;; amdgpu-corpus repo=ROCm/rocFFT kind=compiled arch=gfx906 opt=O3
	.text
	.amdgcn_target "amdgcn-amd-amdhsa--gfx906"
	.amdhsa_code_object_version 6
	.protected	bluestein_single_fwd_len847_dim1_half_op_CI_CI ; -- Begin function bluestein_single_fwd_len847_dim1_half_op_CI_CI
	.globl	bluestein_single_fwd_len847_dim1_half_op_CI_CI
	.p2align	8
	.type	bluestein_single_fwd_len847_dim1_half_op_CI_CI,@function
bluestein_single_fwd_len847_dim1_half_op_CI_CI: ; @bluestein_single_fwd_len847_dim1_half_op_CI_CI
; %bb.0:
	v_mul_u32_u24_e32 v1, 0x354, v0
	s_load_dwordx4 s[12:15], s[4:5], 0x28
	v_lshrrev_b32_e32 v1, 16, v1
	v_mad_u64_u32 v[16:17], s[0:1], s6, 3, v[1:2]
	v_mov_b32_e32 v17, 0
	s_waitcnt lgkmcnt(0)
	v_cmp_gt_u64_e32 vcc, s[12:13], v[16:17]
	s_and_saveexec_b64 s[0:1], vcc
	s_cbranch_execz .LBB0_10
; %bb.1:
	s_load_dwordx4 s[8:11], s[4:5], 0x18
	s_load_dwordx4 s[0:3], s[4:5], 0x0
	v_mul_lo_u16_e32 v1, 0x4d, v1
	v_sub_u16_e32 v46, v0, v1
	v_lshlrev_b32_e32 v27, 2, v46
	s_waitcnt lgkmcnt(0)
	s_load_dwordx4 s[16:19], s[8:9], 0x0
	global_load_dword v47, v27, s[0:1]
	s_mov_b32 s8, 0xaaaaaaab
	s_mov_b32 s13, 0xb08e
	s_mov_b32 s12, 0xb93d
	s_waitcnt lgkmcnt(0)
	v_mad_u64_u32 v[0:1], s[6:7], s18, v16, 0
	v_mad_u64_u32 v[2:3], s[6:7], s16, v46, 0
	s_load_dwordx2 s[4:5], s[4:5], 0x38
	v_mad_u64_u32 v[4:5], s[6:7], s19, v16, v[1:2]
	v_mad_u64_u32 v[5:6], s[6:7], s17, v46, v[3:4]
	v_mov_b32_e32 v1, v4
	v_lshlrev_b64 v[0:1], 2, v[0:1]
	v_mov_b32_e32 v6, s15
	v_mov_b32_e32 v3, v5
	v_add_co_u32_e32 v4, vcc, s14, v0
	v_addc_co_u32_e32 v5, vcc, v6, v1, vcc
	v_lshlrev_b64 v[0:1], 2, v[2:3]
	s_mul_i32 s6, s17, 0x134
	v_add_co_u32_e32 v0, vcc, v4, v0
	s_mul_hi_u32 s7, s16, 0x134
	v_addc_co_u32_e32 v1, vcc, v5, v1, vcc
	s_add_i32 s6, s7, s6
	s_mul_i32 s7, s16, 0x134
	global_load_dword v2, v[0:1], off
	v_mov_b32_e32 v3, s6
	v_add_co_u32_e32 v0, vcc, s7, v0
	v_addc_co_u32_e32 v1, vcc, v1, v3, vcc
	global_load_dword v3, v[0:1], off
	global_load_dword v45, v27, s[0:1] offset:308
	v_mov_b32_e32 v4, s6
	v_add_co_u32_e32 v0, vcc, s7, v0
	v_addc_co_u32_e32 v1, vcc, v1, v4, vcc
	global_load_dword v4, v[0:1], off
	global_load_dword v44, v27, s[0:1] offset:616
	;; [unrolled: 5-line block ×10, first 2 shown]
	v_mul_hi_u32 v0, v16, s8
	s_load_dwordx4 s[8:11], s[10:11], 0x0
	s_movk_i32 s7, 0x3abb
	s_movk_i32 s6, 0x36a6
	v_lshrrev_b32_e32 v0, 1, v0
	v_lshl_add_u32 v0, v0, 1, v0
	v_sub_u32_e32 v0, v16, v0
	v_mul_u32_u24_e32 v0, 0x34f, v0
	v_lshlrev_b32_e32 v48, 2, v0
	v_add_u32_e32 v36, v27, v48
	s_mov_b32 s15, 0xbbadb482
	s_mov_b32 s14, 0xb482bbad
	;; [unrolled: 1-line block ×3, first 2 shown]
	s_waitcnt vmcnt(20)
	v_lshrrev_b32_e32 v1, 16, v2
	v_mul_f16_sdwa v0, v47, v2 dst_sel:DWORD dst_unused:UNUSED_PAD src0_sel:WORD_1 src1_sel:DWORD
	v_mul_f16_sdwa v13, v47, v1 dst_sel:DWORD dst_unused:UNUSED_PAD src0_sel:WORD_1 src1_sel:DWORD
	v_fma_f16 v0, v47, v1, -v0
	v_fma_f16 v13, v47, v2, v13
	s_waitcnt vmcnt(19)
	v_lshrrev_b32_e32 v1, 16, v3
	s_waitcnt vmcnt(18)
	v_mul_f16_sdwa v2, v45, v1 dst_sel:DWORD dst_unused:UNUSED_PAD src0_sel:WORD_1 src1_sel:DWORD
	v_fma_f16 v2, v45, v3, v2
	v_mul_f16_sdwa v3, v45, v3 dst_sel:DWORD dst_unused:UNUSED_PAD src0_sel:WORD_1 src1_sel:DWORD
	v_fma_f16 v1, v45, v1, -v3
	v_pack_b32_f16 v0, v13, v0
	v_pack_b32_f16 v1, v2, v1
	ds_write2_b32 v36, v0, v1 offset1:77
	s_waitcnt vmcnt(17)
	v_lshrrev_b32_e32 v0, 16, v4
	s_waitcnt vmcnt(16)
	v_mul_f16_sdwa v1, v44, v0 dst_sel:DWORD dst_unused:UNUSED_PAD src0_sel:WORD_1 src1_sel:DWORD
	v_mul_f16_sdwa v2, v44, v4 dst_sel:DWORD dst_unused:UNUSED_PAD src0_sel:WORD_1 src1_sel:DWORD
	v_fma_f16 v1, v44, v4, v1
	v_fma_f16 v0, v44, v0, -v2
	v_pack_b32_f16 v0, v1, v0
	s_waitcnt vmcnt(15)
	v_lshrrev_b32_e32 v1, 16, v5
	s_waitcnt vmcnt(14)
	v_mul_f16_sdwa v2, v43, v1 dst_sel:DWORD dst_unused:UNUSED_PAD src0_sel:WORD_1 src1_sel:DWORD
	v_mul_f16_sdwa v3, v43, v5 dst_sel:DWORD dst_unused:UNUSED_PAD src0_sel:WORD_1 src1_sel:DWORD
	v_fma_f16 v2, v43, v5, v2
	v_fma_f16 v1, v43, v1, -v3
	v_pack_b32_f16 v1, v2, v1
	ds_write2_b32 v36, v0, v1 offset0:154 offset1:231
	s_waitcnt vmcnt(13)
	v_lshrrev_b32_e32 v0, 16, v6
	s_waitcnt vmcnt(12)
	v_mul_f16_sdwa v1, v42, v0 dst_sel:DWORD dst_unused:UNUSED_PAD src0_sel:WORD_1 src1_sel:DWORD
	v_mul_f16_sdwa v2, v42, v6 dst_sel:DWORD dst_unused:UNUSED_PAD src0_sel:WORD_1 src1_sel:DWORD
	v_fma_f16 v1, v42, v6, v1
	v_fma_f16 v0, v42, v0, -v2
	v_pack_b32_f16 v0, v1, v0
	s_waitcnt vmcnt(11)
	v_lshrrev_b32_e32 v1, 16, v7
	s_waitcnt vmcnt(10)
	v_mul_f16_sdwa v2, v41, v1 dst_sel:DWORD dst_unused:UNUSED_PAD src0_sel:WORD_1 src1_sel:DWORD
	v_mul_f16_sdwa v3, v41, v7 dst_sel:DWORD dst_unused:UNUSED_PAD src0_sel:WORD_1 src1_sel:DWORD
	v_fma_f16 v2, v41, v7, v2
	v_fma_f16 v1, v41, v1, -v3
	v_pack_b32_f16 v1, v2, v1
	v_add_u32_e32 v4, 0x400, v36
	ds_write2_b32 v4, v0, v1 offset0:52 offset1:129
	s_waitcnt vmcnt(9)
	v_lshrrev_b32_e32 v0, 16, v8
	s_waitcnt vmcnt(8)
	v_mul_f16_sdwa v1, v40, v0 dst_sel:DWORD dst_unused:UNUSED_PAD src0_sel:WORD_1 src1_sel:DWORD
	v_mul_f16_sdwa v2, v40, v8 dst_sel:DWORD dst_unused:UNUSED_PAD src0_sel:WORD_1 src1_sel:DWORD
	v_fma_f16 v1, v40, v8, v1
	v_fma_f16 v0, v40, v0, -v2
	v_pack_b32_f16 v1, v1, v0
	s_waitcnt vmcnt(7)
	v_lshrrev_b32_e32 v0, 16, v9
	s_waitcnt vmcnt(6)
	v_mul_f16_sdwa v2, v39, v0 dst_sel:DWORD dst_unused:UNUSED_PAD src0_sel:WORD_1 src1_sel:DWORD
	v_mul_f16_sdwa v3, v39, v9 dst_sel:DWORD dst_unused:UNUSED_PAD src0_sel:WORD_1 src1_sel:DWORD
	v_fma_f16 v2, v39, v9, v2
	v_fma_f16 v0, v39, v0, -v3
	v_pack_b32_f16 v2, v2, v0
	v_add_u32_e32 v0, 0x600, v36
	;; [unrolled: 18-line block ×3, first 2 shown]
	ds_write2_b32 v5, v1, v2 offset0:104 offset1:181
	s_waitcnt vmcnt(1)
	v_lshrrev_b32_e32 v1, 16, v12
	s_waitcnt vmcnt(0)
	v_mul_f16_sdwa v2, v35, v1 dst_sel:DWORD dst_unused:UNUSED_PAD src0_sel:WORD_1 src1_sel:DWORD
	v_mul_f16_sdwa v3, v35, v12 dst_sel:DWORD dst_unused:UNUSED_PAD src0_sel:WORD_1 src1_sel:DWORD
	v_fma_f16 v2, v35, v12, v2
	v_fma_f16 v1, v35, v1, -v3
	v_pack_b32_f16 v1, v2, v1
	ds_write_b32 v36, v1 offset:3080
	s_waitcnt lgkmcnt(0)
	s_barrier
	ds_read2_b32 v[1:2], v4 offset0:52 offset1:129
	ds_read2_b32 v[6:7], v0 offset0:78 offset1:155
	ds_read2_b32 v[8:9], v36 offset1:77
	ds_read2_b32 v[10:11], v36 offset0:154 offset1:231
	s_waitcnt lgkmcnt(2)
	v_add_f16_e32 v3, v7, v1
	s_waitcnt lgkmcnt(1)
	v_add_f16_e32 v17, v9, v8
	v_add_f16_sdwa v18, v9, v8 dst_sel:DWORD dst_unused:UNUSED_PAD src0_sel:WORD_1 src1_sel:WORD_1
	s_waitcnt lgkmcnt(0)
	v_add_f16_e32 v17, v17, v10
	v_add_f16_sdwa v18, v18, v10 dst_sel:DWORD dst_unused:UNUSED_PAD src0_sel:DWORD src1_sel:WORD_1
	v_add_f16_e32 v17, v17, v11
	v_add_f16_sdwa v18, v18, v11 dst_sel:DWORD dst_unused:UNUSED_PAD src0_sel:DWORD src1_sel:WORD_1
	v_add_f16_sdwa v12, v7, v1 dst_sel:DWORD dst_unused:UNUSED_PAD src0_sel:WORD_1 src1_sel:WORD_1
	v_sub_f16_e32 v13, v1, v7
	v_sub_f16_sdwa v14, v1, v7 dst_sel:DWORD dst_unused:UNUSED_PAD src0_sel:WORD_1 src1_sel:WORD_1
	v_add_f16_e32 v17, v17, v1
	v_add_f16_sdwa v1, v18, v1 dst_sel:DWORD dst_unused:UNUSED_PAD src0_sel:DWORD src1_sel:WORD_1
	v_add_f16_e32 v15, v6, v2
	v_add_f16_sdwa v19, v6, v2 dst_sel:DWORD dst_unused:UNUSED_PAD src0_sel:WORD_1 src1_sel:WORD_1
	v_add_f16_e32 v17, v17, v2
	v_add_f16_sdwa v18, v1, v2 dst_sel:DWORD dst_unused:UNUSED_PAD src0_sel:DWORD src1_sel:WORD_1
	v_sub_f16_e32 v20, v2, v6
	v_sub_f16_sdwa v22, v2, v6 dst_sel:DWORD dst_unused:UNUSED_PAD src0_sel:WORD_1 src1_sel:WORD_1
	ds_read2_b32 v[1:2], v5 offset0:104 offset1:181
	v_add_f16_e32 v17, v17, v6
	v_add_f16_sdwa v6, v18, v6 dst_sel:DWORD dst_unused:UNUSED_PAD src0_sel:DWORD src1_sel:WORD_1
	v_add_f16_e32 v17, v17, v7
	v_add_f16_sdwa v6, v6, v7 dst_sel:DWORD dst_unused:UNUSED_PAD src0_sel:DWORD src1_sel:WORD_1
	s_waitcnt lgkmcnt(0)
	v_add_f16_e32 v7, v2, v10
	v_add_f16_sdwa v18, v2, v10 dst_sel:DWORD dst_unused:UNUSED_PAD src0_sel:WORD_1 src1_sel:WORD_1
	v_sub_f16_e32 v21, v10, v2
	v_sub_f16_sdwa v23, v10, v2 dst_sel:DWORD dst_unused:UNUSED_PAD src0_sel:WORD_1 src1_sel:WORD_1
	v_add_f16_e32 v10, v17, v1
	ds_read_b32 v17, v36 offset:3080
	v_add_f16_e32 v24, v1, v11
	v_add_f16_sdwa v25, v1, v11 dst_sel:DWORD dst_unused:UNUSED_PAD src0_sel:WORD_1 src1_sel:WORD_1
	v_sub_f16_e32 v26, v11, v1
	v_sub_f16_sdwa v28, v11, v1 dst_sel:DWORD dst_unused:UNUSED_PAD src0_sel:WORD_1 src1_sel:WORD_1
	v_add_f16_sdwa v1, v6, v1 dst_sel:DWORD dst_unused:UNUSED_PAD src0_sel:DWORD src1_sel:WORD_1
	v_add_f16_e32 v6, v10, v2
	v_add_f16_sdwa v1, v1, v2 dst_sel:DWORD dst_unused:UNUSED_PAD src0_sel:DWORD src1_sel:WORD_1
	s_waitcnt lgkmcnt(0)
	v_add_f16_e32 v2, v17, v9
	v_sub_f16_sdwa v10, v9, v17 dst_sel:DWORD dst_unused:UNUSED_PAD src0_sel:WORD_1 src1_sel:WORD_1
	v_add_f16_sdwa v30, v17, v9 dst_sel:DWORD dst_unused:UNUSED_PAD src0_sel:WORD_1 src1_sel:WORD_1
	v_sub_f16_e32 v9, v9, v17
	v_mul_f16_e32 v31, 0xb853, v9
	v_mul_f16_e32 v49, 0xbb47, v9
	;; [unrolled: 1-line block ×5, first 2 shown]
	v_fma_f16 v32, v30, s7, v31
	v_fma_f16 v31, v30, s7, -v31
	v_mul_f16_e32 v33, 0xbb47, v10
	v_fma_f16 v50, v30, s6, v49
	v_fma_f16 v49, v30, s6, -v49
	v_mul_f16_e32 v51, 0xbbeb, v10
	v_fma_f16 v54, v30, s13, v53
	v_fma_f16 v53, v30, s13, -v53
	v_fma_f16 v56, v30, s12, v55
	v_fma_f16 v55, v30, s12, -v55
	v_pack_b32_f16 v30, v30, v10
	v_mul_f16_e32 v10, 0xba0c, v10
	v_fma_f16 v29, v2, s7, -v11
	v_fma_f16 v11, v2, s7, v11
	v_fma_f16 v34, v2, s6, -v33
	v_fma_f16 v33, v2, s6, v33
	;; [unrolled: 2-line block ×4, first 2 shown]
	v_pack_b32_f16 v2, v9, v2
	v_pk_mul_f16 v2, v2, s15
	v_pk_fma_f16 v9, v30, s14, v2 neg_lo:[1,0,0] neg_hi:[1,0,0]
	v_mul_f16_e32 v61, 0xba0c, v23
	v_pk_fma_f16 v58, v30, s14, v2
	v_pk_fma_f16 v2, v30, s14, v2 neg_lo:[0,0,1] neg_hi:[0,0,1]
	v_add_f16_e32 v33, v33, v8
	v_pk_add_f16 v59, v9, v8 op_sel:[0,1] op_sel_hi:[1,0]
	v_mul_f16_e32 v60, 0xbb47, v23
	v_fma_f16 v9, v7, s12, v61
	v_add_f16_e32 v29, v29, v8
	v_add_f16_sdwa v30, v32, v8 dst_sel:DWORD dst_unused:UNUSED_PAD src0_sel:DWORD src1_sel:WORD_1
	v_add_f16_e32 v11, v11, v8
	v_add_f16_sdwa v31, v31, v8 dst_sel:DWORD dst_unused:UNUSED_PAD src0_sel:DWORD src1_sel:WORD_1
	;; [unrolled: 2-line block ×3, first 2 shown]
	v_add_f16_sdwa v49, v49, v8 dst_sel:DWORD dst_unused:UNUSED_PAD src0_sel:DWORD src1_sel:WORD_1
	v_add_f16_e32 v50, v52, v8
	v_add_f16_sdwa v52, v54, v8 dst_sel:DWORD dst_unused:UNUSED_PAD src0_sel:DWORD src1_sel:WORD_1
	v_add_f16_e32 v51, v51, v8
	;; [unrolled: 2-line block ×4, first 2 shown]
	v_add_f16_sdwa v55, v55, v8 dst_sel:DWORD dst_unused:UNUSED_PAD src0_sel:DWORD src1_sel:WORD_1
	v_pk_add_f16 v58, v58, v8 op_sel:[0,1] op_sel_hi:[1,0]
	v_pk_add_f16 v2, v2, v8 op_sel:[0,1] op_sel_hi:[1,0]
	v_fma_f16 v8, v7, s6, v60
	v_add_f16_e32 v9, v9, v33
	v_mul_f16_e32 v33, 0xbbeb, v28
	v_add_f16_e32 v8, v8, v11
	v_fma_f16 v10, v24, s13, v33
	s_mov_b32 s14, 0xbbad
	v_mul_f16_e32 v62, 0x3482, v28
	v_add_f16_e32 v8, v10, v8
	v_fma_f16 v10, v24, s14, v62
	v_mul_f16_e32 v63, 0xba0c, v14
	v_add_f16_e32 v9, v10, v9
	v_fma_f16 v10, v3, s12, v63
	;; [unrolled: 3-line block ×6, first 2 shown]
	v_add_f16_e32 v8, v8, v51
	v_mul_f16_e32 v51, 0x3beb, v23
	v_fma_f16 v9, v7, s13, v51
	v_add_f16_e32 v9, v9, v57
	v_mul_f16_e32 v57, 0x3b47, v28
	v_fma_f16 v68, v24, s6, v57
	;; [unrolled: 3-line block ×5, first 2 shown]
	v_mul_f16_e32 v72, 0xba0c, v22
	v_add_f16_e32 v71, v71, v9
	v_fma_f16 v9, v15, s12, v72
	v_mul_f16_e32 v73, 0x3b47, v22
	v_fma_f16 v60, v7, s6, -v60
	v_add_f16_e32 v9, v9, v8
	v_fma_f16 v8, v15, s6, v73
	v_add_f16_e32 v29, v60, v29
	v_mul_f16_e32 v60, 0xbb47, v21
	v_fma_f16 v61, v7, s12, -v61
	v_add_f16_e32 v8, v8, v71
	v_fma_f16 v71, v18, s6, v60
	v_add_f16_e32 v32, v61, v32
	;; [unrolled: 5-line block ×8, first 2 shown]
	v_mul_f16_e32 v66, 0x3853, v20
	v_add_f16_e32 v30, v71, v30
	v_fma_f16 v71, v19, s7, v66
	v_add_f16_e32 v34, v71, v34
	v_pack_b32_f16 v30, v29, v30
	v_mul_lo_u16_e32 v29, 11, v46
	v_pack_b32_f16 v32, v32, v34
	v_lshl_add_u32 v29, v29, 2, v48
	v_add_f16_e32 v6, v6, v17
	v_add_f16_sdwa v1, v1, v17 dst_sel:WORD_1 dst_unused:UNUSED_PAD src0_sel:DWORD src1_sel:WORD_1
	s_barrier
	ds_write2_b32 v29, v30, v32 offset0:1 offset1:2
	v_or_b32_e32 v1, v1, v6
	v_fma_f16 v6, v18, s6, -v60
	v_fma_f16 v17, v18, s12, -v61
	;; [unrolled: 1-line block ×3, first 2 shown]
	v_add_f16_e32 v6, v6, v31
	v_add_f16_e32 v17, v17, v49
	;; [unrolled: 1-line block ×3, first 2 shown]
	v_mul_f16_e32 v31, 0x3482, v21
	v_fma_f16 v49, v7, s13, -v51
	v_mul_f16_e32 v50, 0x3beb, v21
	v_pack_b32_f16 v7, v21, v7
	v_fma_f16 v34, v18, s14, v31
	v_fma_f16 v31, v18, s14, -v31
	v_fma_f16 v51, v18, s13, v50
	v_fma_f16 v50, v18, s13, -v50
	v_pack_b32_f16 v18, v18, v23
	s_mov_b32 s15, 0x38533abb
	v_pk_mul_f16 v7, v7, s16
	v_pk_fma_f16 v21, v18, s15, v7 neg_lo:[1,0,0] neg_hi:[1,0,0]
	v_pk_fma_f16 v23, v18, s15, v7
	v_pk_fma_f16 v7, v18, s15, v7 neg_lo:[0,0,1] neg_hi:[0,0,1]
	v_pk_add_f16 v2, v7, v2
	v_fma_f16 v7, v25, s13, -v33
	v_add_f16_e32 v6, v7, v6
	v_fma_f16 v7, v25, s14, -v62
	v_add_f16_e32 v7, v7, v17
	v_fma_f16 v17, v24, s6, -v57
	v_mul_f16_e32 v18, 0x3b47, v26
	v_add_f16_e32 v31, v31, v53
	v_add_f16_e32 v17, v17, v30
	v_fma_f16 v30, v25, s6, v18
	v_fma_f16 v18, v25, s6, -v18
	v_add_f16_e32 v34, v34, v52
	v_add_f16_e32 v18, v18, v31
	v_fma_f16 v31, v24, s7, -v68
	v_mul_f16_e32 v33, 0xb853, v26
	v_pack_b32_f16 v24, v26, v24
	s_mov_b32 s16, 0xb93dba0c
	v_add_f16_e32 v30, v30, v34
	v_fma_f16 v34, v25, s7, v33
	v_fma_f16 v33, v25, s7, -v33
	v_pack_b32_f16 v25, v25, v28
	s_mov_b32 s15, 0xba0cb93d
	v_pk_mul_f16 v24, v24, s16
	v_pk_add_f16 v21, v21, v59
	v_pk_fma_f16 v26, v25, s15, v24 neg_lo:[1,0,0] neg_hi:[1,0,0]
	v_pk_add_f16 v21, v26, v21
	v_pk_fma_f16 v26, v25, s15, v24
	v_pk_fma_f16 v24, v25, s15, v24 neg_lo:[0,0,1] neg_hi:[0,0,1]
	v_pk_add_f16 v2, v24, v2
	v_fma_f16 v24, v12, s12, -v63
	v_add_f16_e32 v6, v24, v6
	v_fma_f16 v24, v12, s13, -v64
	v_add_f16_e32 v7, v24, v7
	v_fma_f16 v24, v3, s7, -v69
	v_add_f16_e32 v24, v24, v17
	v_mul_f16_e32 v17, 0xb853, v13
	v_add_f16_e32 v49, v49, v54
	v_pk_add_f16 v23, v23, v58
	v_fma_f16 v25, v12, s7, v17
	v_fma_f16 v17, v12, s7, -v17
	v_add_f16_e32 v31, v31, v49
	v_pk_add_f16 v23, v26, v23
	v_add_f16_e32 v26, v17, v18
	v_fma_f16 v17, v3, s14, -v70
	v_add_f16_e32 v28, v17, v31
	v_mul_f16_e32 v17, 0xb482, v13
	v_pack_b32_f16 v3, v13, v3
	s_mov_b32 s15, 0x36a63b47
	v_fma_f16 v18, v12, s14, v17
	v_fma_f16 v17, v12, s14, -v17
	v_pack_b32_f16 v12, v12, v14
	s_mov_b32 s13, 0x3b4736a6
	v_pk_mul_f16 v3, v3, s15
	v_add_f16_e32 v50, v50, v55
	v_pk_fma_f16 v13, v12, s13, v3 neg_lo:[1,0,0] neg_hi:[1,0,0]
	v_pk_fma_f16 v14, v12, s13, v3
	v_pk_fma_f16 v3, v12, s13, v3 neg_lo:[0,0,1] neg_hi:[0,0,1]
	v_add_f16_e32 v51, v51, v56
	v_add_f16_e32 v33, v33, v50
	v_pk_add_f16 v2, v3, v2
	v_fma_f16 v3, v19, s14, -v65
	v_add_f16_e32 v34, v34, v51
	v_add_f16_e32 v31, v17, v33
	;; [unrolled: 1-line block ×3, first 2 shown]
	v_fma_f16 v3, v19, s7, -v66
	v_mul_f16_e32 v6, 0xba0c, v20
	v_add_f16_e32 v25, v25, v30
	v_add_f16_e32 v30, v18, v34
	;; [unrolled: 1-line block ×3, first 2 shown]
	v_fma_f16 v3, v15, s12, -v72
	v_fma_f16 v7, v19, s12, v6
	v_fma_f16 v6, v19, s12, -v6
	v_mul_f16_e32 v12, 0x3b47, v20
	v_pk_add_f16 v13, v13, v21
	v_add_f16_e32 v3, v3, v24
	v_add_f16_e32 v24, v6, v26
	v_fma_f16 v6, v15, s6, -v73
	v_fma_f16 v21, v19, s6, v12
	v_fma_f16 v12, v19, s6, -v12
	v_pack_b32_f16 v15, v20, v15
	s_mov_b32 s7, 0xb08ebbeb
	v_pk_add_f16 v14, v14, v23
	v_add_f16_e32 v23, v21, v30
	v_add_f16_e32 v21, v12, v31
	v_pack_b32_f16 v12, v19, v22
	s_mov_b32 s6, 0xbbebb08e
	v_pk_mul_f16 v15, v15, s7
	v_pk_fma_f16 v19, v12, s6, v15 neg_lo:[1,0,0] neg_hi:[1,0,0]
	v_add_f16_e32 v7, v7, v25
	v_add_f16_e32 v6, v6, v28
	v_pk_add_f16 v13, v19, v13
	v_pk_fma_f16 v19, v12, s6, v15
	v_pk_fma_f16 v12, v12, s6, v15 neg_lo:[0,0,1] neg_hi:[0,0,1]
	v_pk_add_f16 v14, v19, v14
	v_pk_add_f16 v2, v12, v2
	ds_write_b32 v29, v1
	v_pack_b32_f16 v1, v6, v23
	v_pack_b32_f16 v3, v3, v7
	ds_write2_b32 v29, v3, v1 offset0:3 offset1:4
	v_alignbit_b32 v1, v2, v14, 16
	v_alignbit_b32 v2, v14, v13, 16
	ds_write2_b32 v29, v2, v1 offset0:5 offset1:6
	v_pack_b32_f16 v1, v9, v24
	v_pack_b32_f16 v2, v8, v21
	ds_write2_b32 v29, v2, v1 offset0:7 offset1:8
	v_pack_b32_f16 v1, v11, v17
	v_pack_b32_f16 v2, v10, v18
	ds_write2_b32 v29, v2, v1 offset0:9 offset1:10
	v_add_u32_e32 v1, 0x200, v36
	s_waitcnt lgkmcnt(0)
	s_barrier
	ds_read2_b32 v[2:3], v1 offset0:114 offset1:235
	ds_read2_b32 v[0:1], v0 offset0:100 offset1:221
	ds_read_b32 v30, v36 offset:2904
	ds_read2_b32 v[12:13], v36 offset1:121
	v_mov_b32_e32 v32, s1
	v_add_co_u32_e32 v25, vcc, s0, v27
	v_addc_co_u32_e32 v26, vcc, 0, v32, vcc
	v_cmp_gt_u16_e32 vcc, 44, v46
                                        ; implicit-def: $vgpr28
                                        ; implicit-def: $vgpr23
                                        ; implicit-def: $vgpr22
                                        ; implicit-def: $vgpr31
                                        ; implicit-def: $vgpr15
	s_and_saveexec_b64 s[6:7], vcc
	s_cbranch_execz .LBB0_3
; %bb.2:
	ds_read2_b32 v[8:9], v36 offset0:77 offset1:198
	ds_read2_b32 v[10:11], v4 offset0:63 offset1:184
	;; [unrolled: 1-line block ×3, first 2 shown]
	ds_read_b32 v23, v36 offset:3212
	s_waitcnt lgkmcnt(3)
	v_lshrrev_b32_e32 v21, 16, v8
	v_lshrrev_b32_e32 v24, 16, v9
	s_waitcnt lgkmcnt(2)
	v_lshrrev_b32_e32 v18, 16, v10
	v_lshrrev_b32_e32 v17, 16, v11
	;; [unrolled: 3-line block ×3, first 2 shown]
	s_waitcnt lgkmcnt(0)
	v_lshrrev_b32_e32 v22, 16, v23
.LBB0_3:
	s_or_b64 exec, exec, s[6:7]
	s_movk_i32 s6, 0x75
	v_mul_lo_u16_sdwa v4, v46, s6 dst_sel:DWORD dst_unused:UNUSED_PAD src0_sel:BYTE_0 src1_sel:DWORD
	v_sub_u16_sdwa v5, v46, v4 dst_sel:DWORD dst_unused:UNUSED_PAD src0_sel:DWORD src1_sel:BYTE_1
	v_lshrrev_b16_e32 v5, 1, v5
	v_and_b32_e32 v5, 0x7f, v5
	v_add_u16_sdwa v4, v5, v4 dst_sel:DWORD dst_unused:UNUSED_PAD src0_sel:DWORD src1_sel:BYTE_1
	v_lshrrev_b16_e32 v55, 3, v4
	v_mul_lo_u16_e32 v4, 11, v55
	v_sub_u16_e32 v56, v46, v4
	v_mov_b32_e32 v51, 6
	v_mul_u32_u24_sdwa v4, v56, v51 dst_sel:DWORD dst_unused:UNUSED_PAD src0_sel:BYTE_0 src1_sel:DWORD
	v_lshlrev_b32_e32 v50, 2, v4
	global_load_dwordx4 v[4:7], v50, s[2:3]
	s_waitcnt lgkmcnt(0)
	v_lshrrev_b32_e32 v19, 16, v13
	v_lshrrev_b32_e32 v20, 16, v2
	;; [unrolled: 1-line block ×6, first 2 shown]
	s_movk_i32 s7, 0x3b00
	s_mov_b32 s12, 0xbcab
	s_movk_i32 s13, 0x39e0
	s_mov_b32 s14, 0xb9e0
	s_movk_i32 s15, 0x3574
	s_mov_b32 s16, 0xb574
	s_movk_i32 s17, 0x370e
	v_mul_u32_u24_e32 v55, 0x4d, v55
	v_add_u32_sdwa v55, v55, v56 dst_sel:DWORD dst_unused:UNUSED_PAD src0_sel:DWORD src1_sel:BYTE_0
	v_lshl_add_u32 v55, v55, 2, v48
	s_waitcnt vmcnt(0)
	v_mul_f16_sdwa v52, v19, v4 dst_sel:DWORD dst_unused:UNUSED_PAD src0_sel:DWORD src1_sel:WORD_1
	v_fma_f16 v52, v13, v4, -v52
	v_mul_f16_sdwa v13, v13, v4 dst_sel:DWORD dst_unused:UNUSED_PAD src0_sel:DWORD src1_sel:WORD_1
	v_fma_f16 v13, v19, v4, v13
	v_mul_f16_sdwa v19, v20, v5 dst_sel:DWORD dst_unused:UNUSED_PAD src0_sel:DWORD src1_sel:WORD_1
	v_fma_f16 v53, v2, v5, -v19
	v_mul_f16_sdwa v2, v2, v5 dst_sel:DWORD dst_unused:UNUSED_PAD src0_sel:DWORD src1_sel:WORD_1
	v_fma_f16 v54, v20, v5, v2
	global_load_dwordx2 v[19:20], v50, s[2:3] offset:16
	v_mul_f16_sdwa v2, v32, v6 dst_sel:DWORD dst_unused:UNUSED_PAD src0_sel:DWORD src1_sel:WORD_1
	v_fma_f16 v57, v3, v6, -v2
	v_mul_f16_sdwa v2, v3, v6 dst_sel:DWORD dst_unused:UNUSED_PAD src0_sel:DWORD src1_sel:WORD_1
	v_fma_f16 v32, v32, v6, v2
	v_mul_f16_sdwa v2, v33, v7 dst_sel:DWORD dst_unused:UNUSED_PAD src0_sel:DWORD src1_sel:WORD_1
	v_fma_f16 v58, v0, v7, -v2
	v_mul_f16_sdwa v0, v0, v7 dst_sel:DWORD dst_unused:UNUSED_PAD src0_sel:DWORD src1_sel:WORD_1
	v_fma_f16 v33, v33, v7, v0
	s_waitcnt vmcnt(0)
	v_mul_f16_sdwa v0, v34, v19 dst_sel:DWORD dst_unused:UNUSED_PAD src0_sel:DWORD src1_sel:WORD_1
	v_fma_f16 v59, v1, v19, -v0
	v_mul_f16_sdwa v0, v1, v19 dst_sel:DWORD dst_unused:UNUSED_PAD src0_sel:DWORD src1_sel:WORD_1
	v_fma_f16 v34, v34, v19, v0
	v_mul_f16_sdwa v0, v49, v20 dst_sel:DWORD dst_unused:UNUSED_PAD src0_sel:DWORD src1_sel:WORD_1
	v_fma_f16 v60, v30, v20, -v0
	v_mul_f16_sdwa v0, v30, v20 dst_sel:DWORD dst_unused:UNUSED_PAD src0_sel:DWORD src1_sel:WORD_1
	v_fma_f16 v30, v49, v20, v0
	v_add_u16_e32 v0, 0x4d, v46
	v_mul_lo_u16_sdwa v1, v0, s6 dst_sel:DWORD dst_unused:UNUSED_PAD src0_sel:BYTE_0 src1_sel:DWORD
	v_sub_u16_sdwa v2, v0, v1 dst_sel:DWORD dst_unused:UNUSED_PAD src0_sel:DWORD src1_sel:BYTE_1
	v_lshrrev_b16_e32 v2, 1, v2
	v_and_b32_e32 v2, 0x7f, v2
	v_add_u16_sdwa v1, v2, v1 dst_sel:DWORD dst_unused:UNUSED_PAD src0_sel:DWORD src1_sel:BYTE_1
	v_lshrrev_b16_e32 v49, 3, v1
	v_mul_lo_u16_e32 v1, 11, v49
	v_sub_u16_e32 v50, v0, v1
	v_mul_u32_u24_sdwa v0, v50, v51 dst_sel:DWORD dst_unused:UNUSED_PAD src0_sel:BYTE_0 src1_sel:DWORD
	v_lshlrev_b32_e32 v51, 2, v0
	global_load_dwordx4 v[0:3], v51, s[2:3]
	s_movk_i32 s6, 0x2b26
	s_waitcnt vmcnt(0)
	v_mul_f16_sdwa v61, v24, v0 dst_sel:DWORD dst_unused:UNUSED_PAD src0_sel:DWORD src1_sel:WORD_1
	v_fma_f16 v61, v9, v0, -v61
	v_mul_f16_sdwa v9, v9, v0 dst_sel:DWORD dst_unused:UNUSED_PAD src0_sel:DWORD src1_sel:WORD_1
	v_fma_f16 v9, v24, v0, v9
	v_mul_f16_sdwa v24, v18, v1 dst_sel:DWORD dst_unused:UNUSED_PAD src0_sel:DWORD src1_sel:WORD_1
	v_fma_f16 v24, v10, v1, -v24
	v_mul_f16_sdwa v10, v10, v1 dst_sel:DWORD dst_unused:UNUSED_PAD src0_sel:DWORD src1_sel:WORD_1
	v_fma_f16 v10, v18, v1, v10
	;; [unrolled: 4-line block ×3, first 2 shown]
	v_mul_f16_sdwa v17, v31, v3 dst_sel:DWORD dst_unused:UNUSED_PAD src0_sel:DWORD src1_sel:WORD_1
	v_fma_f16 v63, v14, v3, -v17
	global_load_dwordx2 v[17:18], v51, s[2:3] offset:16
	v_mul_f16_sdwa v14, v14, v3 dst_sel:DWORD dst_unused:UNUSED_PAD src0_sel:DWORD src1_sel:WORD_1
	v_fma_f16 v14, v31, v3, v14
	v_add_f16_e32 v51, v13, v30
	v_sub_f16_e32 v13, v13, v30
	v_add_f16_e32 v30, v53, v59
	v_sub_f16_e32 v53, v53, v59
	;; [unrolled: 2-line block ×3, first 2 shown]
	s_waitcnt vmcnt(0)
	s_barrier
	v_mul_f16_sdwa v31, v28, v17 dst_sel:DWORD dst_unused:UNUSED_PAD src0_sel:DWORD src1_sel:WORD_1
	v_fma_f16 v31, v15, v17, -v31
	v_mul_f16_sdwa v15, v15, v17 dst_sel:DWORD dst_unused:UNUSED_PAD src0_sel:DWORD src1_sel:WORD_1
	v_fma_f16 v15, v28, v17, v15
	v_mul_f16_sdwa v28, v22, v18 dst_sel:DWORD dst_unused:UNUSED_PAD src0_sel:DWORD src1_sel:WORD_1
	v_fma_f16 v28, v23, v18, -v28
	v_mul_f16_sdwa v23, v23, v18 dst_sel:DWORD dst_unused:UNUSED_PAD src0_sel:DWORD src1_sel:WORD_1
	v_fma_f16 v22, v22, v18, v23
	v_add_f16_e32 v23, v52, v60
	v_sub_f16_e32 v52, v52, v60
	v_add_f16_e32 v60, v54, v34
	v_sub_f16_e32 v34, v54, v34
	;; [unrolled: 2-line block ×3, first 2 shown]
	v_add_f16_e32 v33, v30, v23
	v_add_f16_e32 v58, v60, v51
	v_sub_f16_e32 v64, v30, v23
	v_sub_f16_e32 v23, v23, v54
	v_sub_f16_e32 v30, v54, v30
	v_add_f16_e32 v33, v54, v33
	v_add_f16_e32 v54, v59, v58
	v_sub_f16_e32 v65, v60, v51
	v_sub_f16_e32 v51, v51, v59
	v_sub_f16_e32 v60, v59, v60
	;; [unrolled: 5-line block ×3, first 2 shown]
	v_sub_f16_e32 v34, v34, v13
	v_add_f16_e32 v58, v33, v12
	v_add_f16_sdwa v12, v54, v12 dst_sel:DWORD dst_unused:UNUSED_PAD src0_sel:DWORD src1_sel:WORD_1
	v_sub_f16_e32 v57, v52, v57
	v_sub_f16_e32 v32, v13, v32
	v_add_f16_e32 v52, v66, v52
	v_add_f16_e32 v13, v67, v13
	v_lshlrev_b32_e32 v59, 16, v12
	v_mul_f16_e32 v23, 0x3a52, v23
	v_mul_f16_e32 v51, 0x3a52, v51
	;; [unrolled: 1-line block ×8, first 2 shown]
	v_or_b32_e32 v59, v59, v58
	v_fma_f16 v33, v33, s12, v58
	v_fma_f16 v12, v54, s12, v12
	;; [unrolled: 1-line block ×4, first 2 shown]
	v_fma_f16 v58, v64, s13, -v66
	v_fma_f16 v60, v65, s13, -v67
	;; [unrolled: 1-line block ×4, first 2 shown]
	v_fma_f16 v64, v57, s15, v68
	v_fma_f16 v65, v32, s15, v69
	v_fma_f16 v53, v53, s7, -v68
	v_fma_f16 v34, v34, s7, -v69
	;; [unrolled: 1-line block ×4, first 2 shown]
	v_add_f16_e32 v30, v30, v33
	v_add_f16_e32 v54, v54, v12
	;; [unrolled: 1-line block ×6, first 2 shown]
	v_fma_f16 v33, v52, s17, v64
	v_fma_f16 v51, v13, s17, v65
	;; [unrolled: 1-line block ×6, first 2 shown]
	v_add_f16_e32 v65, v13, v23
	v_sub_f16_e32 v66, v12, v52
	v_sub_f16_e32 v67, v58, v34
	v_add_f16_e32 v68, v53, v60
	v_add_f16_e32 v34, v34, v58
	v_sub_f16_e32 v58, v60, v53
	v_sub_f16_e32 v60, v23, v13
	v_add_f16_e32 v69, v52, v12
	v_add_f16_e32 v12, v61, v28
	;; [unrolled: 1-line block ×3, first 2 shown]
	v_sub_f16_e32 v23, v61, v28
	v_sub_f16_e32 v9, v9, v22
	v_add_f16_e32 v22, v24, v31
	v_add_f16_e32 v28, v10, v15
	;; [unrolled: 1-line block ×3, first 2 shown]
	v_sub_f16_e32 v70, v30, v51
	v_sub_f16_e32 v24, v24, v31
	;; [unrolled: 1-line block ×3, first 2 shown]
	v_add_f16_e32 v15, v62, v63
	v_add_f16_e32 v30, v11, v14
	v_sub_f16_e32 v31, v63, v62
	v_sub_f16_e32 v11, v14, v11
	v_add_f16_e32 v14, v22, v12
	v_add_f16_e32 v32, v28, v13
	v_sub_f16_e32 v64, v54, v33
	v_add_f16_e32 v33, v33, v54
	v_sub_f16_e32 v51, v22, v12
	v_sub_f16_e32 v52, v28, v13
	;; [unrolled: 1-line block ×6, first 2 shown]
	v_add_f16_e32 v53, v31, v24
	v_add_f16_e32 v54, v11, v10
	v_sub_f16_e32 v61, v31, v24
	v_sub_f16_e32 v62, v11, v10
	;; [unrolled: 1-line block ×4, first 2 shown]
	v_add_f16_e32 v14, v15, v14
	v_add_f16_e32 v15, v30, v32
	v_sub_f16_e32 v31, v23, v31
	v_sub_f16_e32 v11, v9, v11
	v_add_f16_e32 v23, v53, v23
	v_add_f16_e32 v32, v54, v9
	;; [unrolled: 1-line block ×4, first 2 shown]
	v_mul_f16_e32 v12, 0x3a52, v12
	v_mul_f16_e32 v13, 0x3a52, v13
	;; [unrolled: 1-line block ×8, first 2 shown]
	v_fma_f16 v14, v14, s12, v8
	v_fma_f16 v15, v15, s12, v9
	;; [unrolled: 1-line block ×4, first 2 shown]
	v_fma_f16 v21, v51, s13, -v21
	v_fma_f16 v30, v52, s13, -v30
	;; [unrolled: 1-line block ×4, first 2 shown]
	v_fma_f16 v63, v31, s15, v53
	v_fma_f16 v71, v11, s15, v54
	v_fma_f16 v24, v24, s7, -v53
	v_fma_f16 v53, v10, s7, -v54
	;; [unrolled: 1-line block ×4, first 2 shown]
	v_pack_b32_f16 v56, v57, v64
	v_add_f16_e32 v10, v22, v14
	v_add_f16_e32 v11, v28, v15
	;; [unrolled: 1-line block ×6, first 2 shown]
	v_fma_f16 v14, v23, s17, v63
	v_fma_f16 v15, v32, s17, v71
	v_fma_f16 v28, v23, s17, v24
	v_fma_f16 v30, v32, s17, v53
	v_fma_f16 v31, v23, s17, v31
	v_fma_f16 v32, v32, s17, v54
	ds_write2_b32 v55, v59, v56 offset1:11
	v_pack_b32_f16 v56, v65, v66
	v_pack_b32_f16 v57, v67, v68
	v_add_f16_e32 v23, v30, v12
	v_sub_f16_e32 v52, v21, v28
	v_sub_f16_e32 v24, v13, v32
	v_add_f16_e32 v51, v31, v22
	v_sub_f16_e32 v53, v10, v15
	v_add_f16_e32 v54, v14, v11
	ds_write2_b32 v55, v56, v57 offset0:22 offset1:33
	v_pack_b32_f16 v34, v34, v58
	v_pack_b32_f16 v56, v60, v69
	;; [unrolled: 1-line block ×3, first 2 shown]
	ds_write2_b32 v55, v34, v56 offset0:44 offset1:55
	ds_write_b32 v55, v33 offset:264
	s_and_saveexec_b64 s[6:7], vcc
	s_cbranch_execz .LBB0_5
; %bb.4:
	v_sub_f16_e32 v11, v11, v14
	v_mul_u32_u24_e32 v14, 0x4d, v49
	v_add_f16_e32 v10, v15, v10
	v_add_u32_sdwa v14, v14, v50 dst_sel:DWORD dst_unused:UNUSED_PAD src0_sel:DWORD src1_sel:BYTE_0
	s_mov_b32 s12, 0x5040100
	v_add_f16_e32 v21, v28, v21
	v_sub_f16_e32 v12, v12, v30
	v_sub_f16_e32 v22, v22, v31
	v_add_f16_e32 v13, v32, v13
	v_lshl_add_u32 v14, v14, 2, v48
	v_perm_b32 v8, v9, v8, s12
	v_pack_b32_f16 v9, v10, v11
	ds_write2_b32 v14, v8, v9 offset1:11
	v_pack_b32_f16 v8, v13, v22
	v_pack_b32_f16 v9, v12, v21
	ds_write2_b32 v14, v8, v9 offset0:22 offset1:33
	v_perm_b32 v8, v52, v23, s12
	v_perm_b32 v9, v51, v24, s12
	ds_write2_b32 v14, v8, v9 offset0:44 offset1:55
	v_perm_b32 v8, v54, v53, s12
	ds_write_b32 v14, v8 offset:264
.LBB0_5:
	s_or_b64 exec, exec, s[6:7]
	v_mad_u64_u32 v[30:31], s[2:3], v46, 40, s[2:3]
	s_waitcnt lgkmcnt(0)
	s_barrier
	global_load_dwordx4 v[8:11], v[30:31], off offset:264
	global_load_dwordx4 v[12:15], v[30:31], off offset:280
	global_load_dwordx2 v[21:22], v[30:31], off offset:296
	ds_read2_b32 v[32:33], v36 offset1:77
	ds_read2_b32 v[58:59], v36 offset0:154 offset1:231
	v_add_u32_e32 v57, 0x400, v36
	v_add_u32_e32 v31, 0x600, v36
	;; [unrolled: 1-line block ×3, first 2 shown]
	ds_read_b32 v28, v36 offset:3080
	ds_read2_b32 v[60:61], v57 offset0:52 offset1:129
	ds_read2_b32 v[62:63], v31 offset0:78 offset1:155
	ds_read2_b32 v[64:65], v56 offset0:104 offset1:181
	s_waitcnt lgkmcnt(5)
	v_lshrrev_b32_e32 v30, 16, v33
	s_waitcnt lgkmcnt(4)
	v_lshrrev_b32_e32 v34, 16, v58
	v_lshrrev_b32_e32 v66, 16, v59
	s_waitcnt lgkmcnt(2)
	v_lshrrev_b32_e32 v68, 16, v60
	;; [unrolled: 3-line block ×4, first 2 shown]
	v_lshrrev_b32_e32 v67, 16, v28
	v_lshrrev_b32_e32 v73, 16, v65
	s_movk_i32 s2, 0x3abb
	s_movk_i32 s3, 0x36a6
	s_mov_b32 s6, 0xb08e
	s_mov_b32 s7, 0xb93d
	;; [unrolled: 1-line block ×3, first 2 shown]
	s_add_u32 s16, s0, 0xd3c
	s_addc_u32 s17, s1, 0
	s_mov_b32 s0, 0xbb47
	s_mov_b32 s20, 0x1000504
	;; [unrolled: 1-line block ×5, first 2 shown]
	s_movk_i32 s19, 0x3beb
	s_movk_i32 s13, 0x3b47
	;; [unrolled: 1-line block ×3, first 2 shown]
	s_waitcnt vmcnt(2)
	v_mul_f16_sdwa v74, v30, v8 dst_sel:DWORD dst_unused:UNUSED_PAD src0_sel:DWORD src1_sel:WORD_1
	v_mul_f16_sdwa v75, v33, v8 dst_sel:DWORD dst_unused:UNUSED_PAD src0_sel:DWORD src1_sel:WORD_1
	;; [unrolled: 1-line block ×4, first 2 shown]
	v_fma_f16 v33, v33, v8, -v74
	v_fma_f16 v30, v30, v8, v75
	v_mul_f16_sdwa v78, v66, v10 dst_sel:DWORD dst_unused:UNUSED_PAD src0_sel:DWORD src1_sel:WORD_1
	v_mul_f16_sdwa v79, v59, v10 dst_sel:DWORD dst_unused:UNUSED_PAD src0_sel:DWORD src1_sel:WORD_1
	v_fma_f16 v58, v58, v9, -v76
	v_fma_f16 v34, v34, v9, v77
	v_add_f16_e32 v74, v33, v32
	v_add_f16_sdwa v75, v30, v32 dst_sel:DWORD dst_unused:UNUSED_PAD src0_sel:DWORD src1_sel:WORD_1
	v_mul_f16_sdwa v80, v68, v11 dst_sel:DWORD dst_unused:UNUSED_PAD src0_sel:DWORD src1_sel:WORD_1
	v_mul_f16_sdwa v81, v60, v11 dst_sel:DWORD dst_unused:UNUSED_PAD src0_sel:DWORD src1_sel:WORD_1
	v_fma_f16 v59, v59, v10, -v78
	v_fma_f16 v66, v66, v10, v79
	v_add_f16_e32 v74, v74, v58
	v_add_f16_e32 v75, v75, v34
	s_waitcnt vmcnt(1)
	v_mul_f16_sdwa v82, v69, v12 dst_sel:DWORD dst_unused:UNUSED_PAD src0_sel:DWORD src1_sel:WORD_1
	v_mul_f16_sdwa v83, v61, v12 dst_sel:DWORD dst_unused:UNUSED_PAD src0_sel:DWORD src1_sel:WORD_1
	v_fma_f16 v60, v60, v11, -v80
	v_fma_f16 v68, v68, v11, v81
	v_add_f16_e32 v74, v74, v59
	v_add_f16_e32 v75, v75, v66
	v_mul_f16_sdwa v84, v70, v13 dst_sel:DWORD dst_unused:UNUSED_PAD src0_sel:DWORD src1_sel:WORD_1
	v_mul_f16_sdwa v85, v62, v13 dst_sel:DWORD dst_unused:UNUSED_PAD src0_sel:DWORD src1_sel:WORD_1
	v_fma_f16 v61, v61, v12, -v82
	v_fma_f16 v69, v69, v12, v83
	v_add_f16_e32 v74, v74, v60
	v_add_f16_e32 v75, v75, v68
	;; [unrolled: 6-line block ×3, first 2 shown]
	v_mul_f16_sdwa v88, v72, v15 dst_sel:DWORD dst_unused:UNUSED_PAD src0_sel:DWORD src1_sel:WORD_1
	v_mul_f16_sdwa v89, v64, v15 dst_sel:DWORD dst_unused:UNUSED_PAD src0_sel:DWORD src1_sel:WORD_1
	s_waitcnt vmcnt(0)
	v_mul_f16_sdwa v93, v28, v22 dst_sel:DWORD dst_unused:UNUSED_PAD src0_sel:DWORD src1_sel:WORD_1
	v_fma_f16 v63, v63, v14, -v86
	v_fma_f16 v71, v71, v14, v87
	v_add_f16_e32 v74, v74, v62
	v_add_f16_e32 v75, v75, v70
	v_mul_f16_sdwa v90, v73, v21 dst_sel:DWORD dst_unused:UNUSED_PAD src0_sel:DWORD src1_sel:WORD_1
	v_mul_f16_sdwa v91, v65, v21 dst_sel:DWORD dst_unused:UNUSED_PAD src0_sel:DWORD src1_sel:WORD_1
	v_mul_f16_sdwa v92, v67, v22 dst_sel:DWORD dst_unused:UNUSED_PAD src0_sel:DWORD src1_sel:WORD_1
	v_fma_f16 v64, v64, v15, -v88
	v_fma_f16 v72, v72, v15, v89
	v_fma_f16 v67, v67, v22, v93
	v_add_f16_e32 v74, v74, v63
	v_add_f16_e32 v75, v75, v71
	v_fma_f16 v65, v65, v21, -v90
	v_fma_f16 v73, v73, v21, v91
	v_fma_f16 v28, v28, v22, -v92
	v_add_f16_e32 v77, v30, v67
	v_sub_f16_e32 v30, v30, v67
	v_add_f16_e32 v74, v74, v64
	v_add_f16_e32 v75, v75, v72
	;; [unrolled: 1-line block ×3, first 2 shown]
	v_sub_f16_e32 v33, v33, v28
	v_mul_f16_e32 v78, 0xb853, v30
	v_add_f16_e32 v74, v74, v65
	v_add_f16_e32 v75, v75, v73
	v_mul_f16_e32 v79, 0xb853, v33
	v_fma_f16 v80, v76, s2, -v78
	v_add_f16_e32 v28, v74, v28
	v_add_f16_sdwa v67, v75, v67 dst_sel:WORD_1 dst_unused:UNUSED_PAD src0_sel:DWORD src1_sel:DWORD
	v_fma_f16 v74, v76, s2, v78
	v_mul_f16_e32 v78, 0xbb47, v30
	v_mul_f16_e32 v81, 0xbb47, v33
	;; [unrolled: 1-line block ×8, first 2 shown]
	v_or_b32_e32 v28, v67, v28
	v_fma_f16 v67, v77, s2, v79
	v_fma_f16 v75, v77, s2, -v79
	v_fma_f16 v79, v76, s3, -v78
	v_fma_f16 v82, v77, s3, v81
	v_fma_f16 v78, v76, s3, v78
	v_fma_f16 v81, v77, s3, -v81
	v_fma_f16 v84, v76, s6, -v83
	v_fma_f16 v86, v77, s6, v85
	;; [unrolled: 4-line block ×4, first 2 shown]
	v_fma_f16 v30, v76, s12, v30
	v_fma_f16 v33, v77, s12, -v33
	v_add_f16_e32 v76, v34, v73
	v_sub_f16_e32 v34, v34, v73
	v_add_f16_e32 v80, v80, v32
	v_add_f16_sdwa v67, v67, v32 dst_sel:DWORD dst_unused:UNUSED_PAD src0_sel:DWORD src1_sel:WORD_1
	v_add_f16_e32 v74, v74, v32
	v_add_f16_sdwa v75, v75, v32 dst_sel:DWORD dst_unused:UNUSED_PAD src0_sel:DWORD src1_sel:WORD_1
	;; [unrolled: 2-line block ×10, first 2 shown]
	v_add_f16_e32 v33, v58, v65
	v_sub_f16_e32 v58, v58, v65
	v_mul_f16_e32 v65, 0xbb47, v34
	v_fma_f16 v73, v33, s3, -v65
	v_mul_f16_e32 v77, 0xbb47, v58
	v_fma_f16 v65, v33, s3, v65
	v_add_f16_e32 v65, v65, v74
	v_fma_f16 v74, v76, s3, -v77
	v_add_f16_e32 v74, v74, v75
	v_mul_f16_e32 v75, 0xba0c, v34
	v_add_f16_e32 v73, v73, v80
	v_fma_f16 v80, v76, s3, v77
	v_fma_f16 v77, v33, s7, -v75
	v_add_f16_e32 v77, v77, v79
	v_mul_f16_e32 v79, 0xba0c, v58
	v_fma_f16 v75, v33, s7, v75
	v_add_f16_e32 v67, v80, v67
	v_fma_f16 v80, v76, s7, v79
	v_add_f16_e32 v75, v75, v78
	v_fma_f16 v78, v76, s7, -v79
	v_mul_f16_e32 v79, 0x3482, v34
	v_add_f16_e32 v80, v80, v82
	v_add_f16_e32 v78, v78, v81
	v_fma_f16 v81, v33, s12, -v79
	v_mul_f16_e32 v82, 0x3482, v58
	v_fma_f16 v79, v33, s12, v79
	v_add_f16_e32 v81, v81, v84
	v_fma_f16 v84, v76, s12, v82
	v_add_f16_e32 v79, v79, v83
	v_fma_f16 v82, v76, s12, -v82
	v_mul_f16_e32 v83, 0x3beb, v34
	v_add_f16_e32 v82, v82, v85
	v_fma_f16 v85, v33, s6, -v83
	v_fma_f16 v83, v33, s6, v83
	v_mul_f16_e32 v34, 0x3853, v34
	v_add_f16_e32 v84, v84, v86
	v_mul_f16_e32 v86, 0x3beb, v58
	v_add_f16_e32 v83, v83, v87
	v_fma_f16 v87, v33, s2, -v34
	v_mul_f16_e32 v58, 0x3853, v58
	v_fma_f16 v33, v33, s2, v34
	v_add_f16_e32 v85, v85, v88
	v_fma_f16 v88, v76, s6, v86
	v_fma_f16 v86, v76, s6, -v86
	v_add_f16_e32 v30, v33, v30
	v_fma_f16 v33, v76, s2, -v58
	v_add_f16_e32 v86, v86, v89
	v_fma_f16 v89, v76, s2, v58
	v_add_f16_e32 v32, v33, v32
	v_add_f16_e32 v33, v59, v64
	v_sub_f16_e32 v58, v59, v64
	v_sub_f16_e32 v59, v66, v72
	v_mul_f16_e32 v64, 0xbbeb, v59
	v_add_f16_e32 v34, v66, v72
	v_fma_f16 v66, v33, s6, -v64
	v_mul_f16_e32 v72, 0xbbeb, v58
	v_fma_f16 v64, v33, s6, v64
	v_add_f16_e32 v66, v66, v73
	v_fma_f16 v73, v34, s6, v72
	v_add_f16_e32 v64, v64, v65
	v_fma_f16 v65, v34, s6, -v72
	v_mul_f16_e32 v72, 0x3482, v59
	v_add_f16_e32 v67, v73, v67
	v_fma_f16 v73, v33, s12, -v72
	v_fma_f16 v72, v33, s12, v72
	v_add_f16_e32 v65, v65, v74
	v_mul_f16_e32 v74, 0x3482, v58
	v_add_f16_e32 v72, v72, v75
	v_mul_f16_e32 v75, 0x3b47, v59
	v_add_f16_e32 v73, v73, v77
	v_fma_f16 v76, v34, s12, v74
	v_fma_f16 v74, v34, s12, -v74
	v_fma_f16 v77, v33, s3, -v75
	v_fma_f16 v75, v33, s3, v75
	v_add_f16_e32 v74, v74, v78
	v_mul_f16_e32 v78, 0x3b47, v58
	v_add_f16_e32 v75, v75, v79
	v_mul_f16_e32 v79, 0xb853, v59
	v_add_f16_e32 v76, v76, v80
	v_add_f16_e32 v77, v77, v81
	v_fma_f16 v80, v34, s3, v78
	v_fma_f16 v78, v34, s3, -v78
	v_fma_f16 v81, v33, s2, -v79
	v_fma_f16 v79, v33, s2, v79
	v_mul_f16_e32 v59, 0xba0c, v59
	v_add_f16_e32 v78, v78, v82
	v_mul_f16_e32 v82, 0xb853, v58
	v_add_f16_e32 v79, v79, v83
	v_fma_f16 v83, v33, s7, -v59
	v_mul_f16_e32 v58, 0xba0c, v58
	v_fma_f16 v33, v33, s7, v59
	v_add_f16_e32 v30, v33, v30
	v_fma_f16 v33, v34, s7, -v58
	v_sub_f16_e32 v59, v68, v71
	v_add_f16_e32 v81, v81, v85
	v_fma_f16 v85, v34, s7, v58
	v_add_f16_e32 v32, v33, v32
	v_add_f16_e32 v33, v60, v63
	v_sub_f16_e32 v58, v60, v63
	v_mul_f16_e32 v60, 0xba0c, v59
	v_fma_f16 v63, v33, s7, -v60
	v_add_f16_e32 v80, v80, v84
	v_fma_f16 v84, v34, s2, v82
	v_fma_f16 v82, v34, s2, -v82
	v_add_f16_e32 v34, v68, v71
	v_add_f16_e32 v63, v63, v66
	v_mul_f16_e32 v66, 0xba0c, v58
	v_fma_f16 v60, v33, s7, v60
	v_add_f16_e32 v60, v60, v64
	v_fma_f16 v64, v34, s7, -v66
	v_add_f16_e32 v64, v64, v65
	v_mul_f16_e32 v65, 0x3beb, v59
	v_fma_f16 v68, v34, s7, v66
	v_fma_f16 v66, v33, s6, -v65
	v_fma_f16 v65, v33, s6, v65
	v_add_f16_e32 v67, v68, v67
	v_mul_f16_e32 v68, 0x3beb, v58
	v_add_f16_e32 v65, v65, v72
	v_mul_f16_e32 v72, 0xb853, v59
	v_add_f16_e32 v66, v66, v73
	v_fma_f16 v71, v34, s6, v68
	v_fma_f16 v68, v34, s6, -v68
	v_fma_f16 v73, v33, s2, -v72
	v_fma_f16 v72, v33, s2, v72
	v_add_f16_e32 v68, v68, v74
	v_mul_f16_e32 v74, 0xb853, v58
	v_add_f16_e32 v72, v72, v75
	v_mul_f16_e32 v75, 0xb482, v59
	v_add_f16_e32 v71, v71, v76
	v_add_f16_e32 v73, v73, v77
	v_fma_f16 v76, v34, s2, v74
	v_fma_f16 v74, v34, s2, -v74
	v_fma_f16 v77, v33, s12, -v75
	v_fma_f16 v75, v33, s12, v75
	v_mul_f16_e32 v59, 0x3b47, v59
	v_add_f16_e32 v74, v74, v78
	v_mul_f16_e32 v78, 0xb482, v58
	v_add_f16_e32 v75, v75, v79
	v_fma_f16 v79, v33, s3, -v59
	v_mul_f16_e32 v58, 0x3b47, v58
	v_fma_f16 v33, v33, s3, v59
	v_add_f16_e32 v30, v33, v30
	v_fma_f16 v33, v34, s3, -v58
	v_sub_f16_e32 v59, v69, v70
	v_add_f16_e32 v77, v77, v81
	v_fma_f16 v81, v34, s3, v58
	v_add_f16_e32 v32, v33, v32
	v_add_f16_e32 v33, v61, v62
	v_sub_f16_e32 v58, v61, v62
	v_mul_f16_e32 v61, 0xb482, v59
	v_fma_f16 v62, v33, s12, -v61
	v_add_f16_e32 v76, v76, v80
	v_fma_f16 v80, v34, s12, v78
	v_fma_f16 v78, v34, s12, -v78
	v_add_f16_e32 v34, v69, v70
	v_add_f16_e32 v62, v62, v63
	v_mul_f16_e32 v63, 0xb482, v58
	v_fma_f16 v61, v33, s12, v61
	v_fma_f16 v69, v34, s12, v63
	v_add_f16_e32 v60, v61, v60
	v_fma_f16 v61, v34, s12, -v63
	v_mul_f16_e32 v63, 0x3853, v59
	v_add_f16_e32 v61, v61, v64
	v_fma_f16 v64, v33, s2, -v63
	v_add_f16_e32 v64, v64, v66
	v_mul_f16_e32 v66, 0x3853, v58
	v_fma_f16 v63, v33, s2, v63
	v_add_f16_e32 v67, v69, v67
	v_fma_f16 v69, v34, s2, v66
	v_add_f16_e32 v63, v63, v65
	v_fma_f16 v65, v34, s2, -v66
	v_mul_f16_e32 v66, 0xba0c, v59
	v_add_f16_e32 v65, v65, v68
	v_fma_f16 v68, v33, s7, -v66
	v_fma_f16 v66, v33, s7, v66
	v_mul_f16_e32 v70, 0xba0c, v58
	v_add_f16_e32 v66, v66, v72
	v_mul_f16_e32 v72, 0x3b47, v59
	v_add_f16_e32 v69, v69, v71
	v_add_f16_e32 v68, v68, v73
	v_fma_f16 v71, v34, s7, v70
	v_fma_f16 v70, v34, s7, -v70
	v_fma_f16 v73, v33, s3, -v72
	v_fma_f16 v72, v33, s3, v72
	v_mul_f16_e32 v59, 0xbbeb, v59
	v_add_f16_e32 v88, v88, v90
	v_add_f16_e32 v87, v87, v91
	;; [unrolled: 1-line block ×4, first 2 shown]
	v_mul_f16_e32 v74, 0x3b47, v58
	v_add_f16_e32 v72, v72, v75
	v_fma_f16 v75, v33, s6, -v59
	v_mul_f16_e32 v58, 0xbbeb, v58
	v_fma_f16 v33, v33, s6, v59
	v_add_f16_e32 v84, v84, v88
	v_add_f16_e32 v83, v83, v87
	;; [unrolled: 1-line block ×4, first 2 shown]
	v_fma_f16 v33, v34, s6, -v58
	v_add_f16_e32 v82, v82, v86
	v_add_f16_e32 v80, v80, v84
	;; [unrolled: 1-line block ×6, first 2 shown]
	v_fma_f16 v76, v34, s3, v74
	v_fma_f16 v77, v34, s6, v58
	v_add_f16_e32 v32, v33, v32
	v_pack_b32_f16 v33, v62, v67
	v_add_f16_e32 v78, v78, v82
	v_add_f16_e32 v76, v76, v80
	v_fma_f16 v74, v34, s3, -v74
	v_add_f16_e32 v75, v75, v79
	v_add_f16_e32 v77, v77, v81
	ds_write2_b32 v36, v28, v33 offset1:77
	v_pack_b32_f16 v28, v64, v69
	v_pack_b32_f16 v33, v68, v71
	v_add_f16_e32 v74, v74, v78
	ds_write2_b32 v36, v28, v33 offset0:154 offset1:231
	v_pack_b32_f16 v28, v73, v76
	v_pack_b32_f16 v33, v75, v77
	ds_write2_b32 v57, v28, v33 offset0:52 offset1:129
	v_pack_b32_f16 v28, v30, v32
	v_pack_b32_f16 v30, v72, v74
	;; [unrolled: 3-line block ×3, first 2 shown]
	ds_write2_b32 v56, v28, v30 offset0:104 offset1:181
	v_pack_b32_f16 v28, v60, v61
	ds_write_b32 v36, v28 offset:3080
	s_waitcnt lgkmcnt(0)
	s_barrier
	global_load_dword v28, v[25:26], off offset:3388
	global_load_dword v30, v27, s[16:17] offset:308
	global_load_dword v32, v27, s[16:17] offset:616
	;; [unrolled: 1-line block ×10, first 2 shown]
	ds_read2_b32 v[25:26], v36 offset1:77
	s_mov_b32 s17, 0xb482
	s_movk_i32 s16, 0x3853
	s_waitcnt lgkmcnt(0)
	v_lshrrev_b32_e32 v27, 16, v25
	s_waitcnt vmcnt(10)
	v_mul_f16_sdwa v64, v27, v28 dst_sel:DWORD dst_unused:UNUSED_PAD src0_sel:DWORD src1_sel:WORD_1
	v_fma_f16 v64, v25, v28, -v64
	v_mul_f16_sdwa v25, v25, v28 dst_sel:DWORD dst_unused:UNUSED_PAD src0_sel:DWORD src1_sel:WORD_1
	v_fma_f16 v25, v27, v28, v25
	v_pack_b32_f16 v25, v64, v25
	v_lshrrev_b32_e32 v64, 16, v26
	s_waitcnt vmcnt(9)
	v_mul_f16_sdwa v27, v64, v30 dst_sel:DWORD dst_unused:UNUSED_PAD src0_sel:DWORD src1_sel:WORD_1
	v_fma_f16 v65, v26, v30, -v27
	ds_read2_b32 v[27:28], v36 offset0:154 offset1:231
	v_mul_f16_sdwa v26, v26, v30 dst_sel:DWORD dst_unused:UNUSED_PAD src0_sel:DWORD src1_sel:WORD_1
	v_fma_f16 v26, v64, v30, v26
	v_pack_b32_f16 v26, v65, v26
	ds_write2_b32 v36, v25, v26 offset1:77
	s_waitcnt lgkmcnt(1)
	v_lshrrev_b32_e32 v25, 16, v27
	s_waitcnt vmcnt(8)
	v_mul_f16_sdwa v26, v25, v32 dst_sel:DWORD dst_unused:UNUSED_PAD src0_sel:DWORD src1_sel:WORD_1
	v_fma_f16 v26, v27, v32, -v26
	v_mul_f16_sdwa v27, v27, v32 dst_sel:DWORD dst_unused:UNUSED_PAD src0_sel:DWORD src1_sel:WORD_1
	v_fma_f16 v25, v25, v32, v27
	v_lshrrev_b32_e32 v30, 16, v28
	v_pack_b32_f16 v27, v26, v25
	s_waitcnt vmcnt(7)
	v_mul_f16_sdwa v25, v30, v33 dst_sel:DWORD dst_unused:UNUSED_PAD src0_sel:DWORD src1_sel:WORD_1
	v_fma_f16 v32, v28, v33, -v25
	ds_read2_b32 v[25:26], v57 offset0:52 offset1:129
	v_mul_f16_sdwa v28, v28, v33 dst_sel:DWORD dst_unused:UNUSED_PAD src0_sel:DWORD src1_sel:WORD_1
	v_fma_f16 v28, v30, v33, v28
	v_pack_b32_f16 v28, v32, v28
	ds_write2_b32 v36, v27, v28 offset0:154 offset1:231
	s_waitcnt lgkmcnt(1)
	v_lshrrev_b32_e32 v27, 16, v25
	s_waitcnt vmcnt(6)
	v_mul_f16_sdwa v28, v27, v34 dst_sel:DWORD dst_unused:UNUSED_PAD src0_sel:DWORD src1_sel:WORD_1
	v_fma_f16 v28, v25, v34, -v28
	v_mul_f16_sdwa v25, v25, v34 dst_sel:DWORD dst_unused:UNUSED_PAD src0_sel:DWORD src1_sel:WORD_1
	v_lshrrev_b32_e32 v30, 16, v26
	v_fma_f16 v25, v27, v34, v25
	s_waitcnt vmcnt(5)
	v_mul_f16_sdwa v27, v30, v58 dst_sel:DWORD dst_unused:UNUSED_PAD src0_sel:DWORD src1_sel:WORD_1
	v_pack_b32_f16 v25, v28, v25
	v_fma_f16 v32, v26, v58, -v27
	ds_read2_b32 v[27:28], v31 offset0:78 offset1:155
	v_mul_f16_sdwa v26, v26, v58 dst_sel:DWORD dst_unused:UNUSED_PAD src0_sel:DWORD src1_sel:WORD_1
	v_fma_f16 v26, v30, v58, v26
	v_pack_b32_f16 v26, v32, v26
	ds_write2_b32 v57, v25, v26 offset0:52 offset1:129
	s_waitcnt lgkmcnt(1)
	v_lshrrev_b32_e32 v25, 16, v27
	s_waitcnt vmcnt(4)
	v_mul_f16_sdwa v26, v25, v59 dst_sel:DWORD dst_unused:UNUSED_PAD src0_sel:DWORD src1_sel:WORD_1
	v_fma_f16 v26, v27, v59, -v26
	v_mul_f16_sdwa v27, v27, v59 dst_sel:DWORD dst_unused:UNUSED_PAD src0_sel:DWORD src1_sel:WORD_1
	v_fma_f16 v25, v25, v59, v27
	v_lshrrev_b32_e32 v30, 16, v28
	v_pack_b32_f16 v27, v26, v25
	s_waitcnt vmcnt(3)
	v_mul_f16_sdwa v25, v30, v60 dst_sel:DWORD dst_unused:UNUSED_PAD src0_sel:DWORD src1_sel:WORD_1
	v_fma_f16 v32, v28, v60, -v25
	ds_read2_b32 v[25:26], v56 offset0:104 offset1:181
	v_mul_f16_sdwa v28, v28, v60 dst_sel:DWORD dst_unused:UNUSED_PAD src0_sel:DWORD src1_sel:WORD_1
	v_fma_f16 v28, v30, v60, v28
	v_pack_b32_f16 v28, v32, v28
	ds_write2_b32 v31, v27, v28 offset0:78 offset1:155
	s_waitcnt lgkmcnt(1)
	v_lshrrev_b32_e32 v27, 16, v25
	s_waitcnt vmcnt(2)
	v_mul_f16_sdwa v28, v27, v61 dst_sel:DWORD dst_unused:UNUSED_PAD src0_sel:DWORD src1_sel:WORD_1
	v_fma_f16 v28, v25, v61, -v28
	v_mul_f16_sdwa v25, v25, v61 dst_sel:DWORD dst_unused:UNUSED_PAD src0_sel:DWORD src1_sel:WORD_1
	v_fma_f16 v25, v27, v61, v25
	v_lshrrev_b32_e32 v27, 16, v26
	ds_read_b32 v30, v36 offset:3080
	v_pack_b32_f16 v25, v28, v25
	s_waitcnt vmcnt(1)
	v_mul_f16_sdwa v28, v27, v62 dst_sel:DWORD dst_unused:UNUSED_PAD src0_sel:DWORD src1_sel:WORD_1
	v_fma_f16 v28, v26, v62, -v28
	v_mul_f16_sdwa v26, v26, v62 dst_sel:DWORD dst_unused:UNUSED_PAD src0_sel:DWORD src1_sel:WORD_1
	v_fma_f16 v26, v27, v62, v26
	v_pack_b32_f16 v26, v28, v26
	ds_write2_b32 v56, v25, v26 offset0:104 offset1:181
	s_waitcnt lgkmcnt(1)
	v_lshrrev_b32_e32 v25, 16, v30
	s_waitcnt vmcnt(0)
	v_mul_f16_sdwa v26, v25, v63 dst_sel:DWORD dst_unused:UNUSED_PAD src0_sel:DWORD src1_sel:WORD_1
	v_mul_f16_sdwa v27, v30, v63 dst_sel:DWORD dst_unused:UNUSED_PAD src0_sel:DWORD src1_sel:WORD_1
	v_fma_f16 v26, v30, v63, -v26
	v_fma_f16 v25, v25, v63, v27
	v_pack_b32_f16 v25, v26, v25
	ds_write_b32 v36, v25 offset:3080
	s_waitcnt lgkmcnt(0)
	s_barrier
	ds_read2_b32 v[25:26], v36 offset1:77
	ds_read2_b32 v[27:28], v36 offset0:154 offset1:231
	ds_read2_b32 v[32:33], v57 offset0:52 offset1:129
	;; [unrolled: 1-line block ×4, first 2 shown]
	ds_read_b32 v30, v36 offset:3080
	s_waitcnt lgkmcnt(5)
	v_alignbit_b32 v62, s0, v26, 16
	v_pk_add_f16 v34, v26, v25 op_sel_hi:[1,0]
	v_pk_add_f16 v62, v62, v25 op_sel:[0,1] op_sel_hi:[1,0]
	s_waitcnt lgkmcnt(4)
	v_alignbit_b32 v63, s0, v27, 16
	v_pk_add_f16 v34, v34, v27
	v_pk_add_f16 v62, v62, v63
	v_alignbit_b32 v63, s0, v28, 16
	v_pk_add_f16 v34, v34, v28
	v_pk_add_f16 v62, v62, v63
	s_waitcnt lgkmcnt(3)
	v_alignbit_b32 v63, s0, v32, 16
	v_pk_add_f16 v34, v34, v32
	v_pk_add_f16 v62, v62, v63
	v_alignbit_b32 v63, s0, v33, 16
	v_pk_add_f16 v34, v34, v33
	v_pk_add_f16 v62, v62, v63
	;; [unrolled: 7-line block ×4, first 2 shown]
	s_waitcnt lgkmcnt(0)
	v_alignbit_b32 v63, s0, v30, 16
	v_pk_add_f16 v34, v34, v30
	v_pk_add_f16 v62, v62, v63
	v_perm_b32 v34, v34, v62, s20
	v_pk_add_f16 v62, v30, v26
	v_pk_add_f16 v26, v26, v30 neg_lo:[0,1] neg_hi:[0,1]
	v_mul_f16_sdwa v30, v26, s15 dst_sel:DWORD dst_unused:UNUSED_PAD src0_sel:WORD_1 src1_sel:DWORD
	v_mul_f16_sdwa v66, v26, s0 dst_sel:DWORD dst_unused:UNUSED_PAD src0_sel:WORD_1 src1_sel:DWORD
	;; [unrolled: 1-line block ×4, first 2 shown]
	v_fma_f16 v63, v62, s2, v30
	v_mul_f16_sdwa v64, v62, s2 dst_sel:DWORD dst_unused:UNUSED_PAD src0_sel:WORD_1 src1_sel:DWORD
	v_fma_f16 v30, v62, s2, -v30
	v_fma_f16 v67, v62, s3, v66
	v_mul_f16_sdwa v68, v62, s3 dst_sel:DWORD dst_unused:UNUSED_PAD src0_sel:WORD_1 src1_sel:DWORD
	v_fma_f16 v66, v62, s3, -v66
	;; [unrolled: 3-line block ×3, first 2 shown]
	v_fma_f16 v75, v62, s7, v74
	v_mul_f16_sdwa v76, v62, s7 dst_sel:DWORD dst_unused:UNUSED_PAD src0_sel:WORD_1 src1_sel:DWORD
	s_movk_i32 s20, 0x3a0c
	v_fma_f16 v74, v62, s7, -v74
	v_pk_mul_f16 v62, v62, s12 op_sel_hi:[1,0]
	v_fma_f16 v65, v26, s16, v64
	v_fma_f16 v64, v26, s15, v64
	;; [unrolled: 1-line block ×8, first 2 shown]
	v_pk_fma_f16 v78, v26, s17, v62 op_sel:[0,0,1] op_sel_hi:[1,0,0]
	v_pk_fma_f16 v26, v26, s17, v62 op_sel:[0,0,1] op_sel_hi:[1,0,0] neg_lo:[1,0,0] neg_hi:[1,0,0]
	v_add_f16_e32 v63, v63, v25
	v_add_f16_sdwa v65, v65, v25 dst_sel:DWORD dst_unused:UNUSED_PAD src0_sel:DWORD src1_sel:WORD_1
	v_add_f16_e32 v30, v30, v25
	v_add_f16_sdwa v64, v64, v25 dst_sel:DWORD dst_unused:UNUSED_PAD src0_sel:DWORD src1_sel:WORD_1
	;; [unrolled: 2-line block ×8, first 2 shown]
	v_pk_add_f16 v78, v78, v25 op_sel:[0,1] op_sel_hi:[1,0]
	v_pk_add_f16 v25, v26, v25 op_sel:[0,1] op_sel_hi:[1,0]
	v_pk_add_f16 v26, v61, v27
	v_pk_add_f16 v27, v27, v61 neg_lo:[0,1] neg_hi:[0,1]
	v_mul_f16_sdwa v61, v27, s0 dst_sel:DWORD dst_unused:UNUSED_PAD src0_sel:WORD_1 src1_sel:DWORD
	v_fma_f16 v62, v26, s3, v61
	v_add_f16_e32 v62, v62, v63
	v_mul_f16_sdwa v63, v26, s3 dst_sel:DWORD dst_unused:UNUSED_PAD src0_sel:WORD_1 src1_sel:DWORD
	v_fma_f16 v61, v26, s3, -v61
	v_fma_f16 v79, v27, s13, v63
	v_add_f16_e32 v30, v61, v30
	v_fma_f16 v61, v27, s0, v63
	v_mul_f16_sdwa v63, v27, s14 dst_sel:DWORD dst_unused:UNUSED_PAD src0_sel:WORD_1 src1_sel:DWORD
	v_add_f16_e32 v61, v61, v64
	v_fma_f16 v64, v26, s7, v63
	v_add_f16_e32 v64, v64, v67
	v_mul_f16_sdwa v67, v26, s7 dst_sel:DWORD dst_unused:UNUSED_PAD src0_sel:WORD_1 src1_sel:DWORD
	v_fma_f16 v63, v26, s7, -v63
	v_add_f16_e32 v65, v79, v65
	v_fma_f16 v79, v27, s20, v67
	v_add_f16_e32 v63, v63, v66
	v_fma_f16 v66, v27, s14, v67
	v_mul_f16_sdwa v67, v27, s18 dst_sel:DWORD dst_unused:UNUSED_PAD src0_sel:WORD_1 src1_sel:DWORD
	v_add_f16_e32 v66, v66, v68
	v_fma_f16 v68, v26, s12, v67
	v_add_f16_e32 v68, v68, v71
	v_mul_f16_sdwa v71, v26, s12 dst_sel:DWORD dst_unused:UNUSED_PAD src0_sel:WORD_1 src1_sel:DWORD
	v_fma_f16 v67, v26, s12, -v67
	v_add_f16_e32 v69, v79, v69
	v_fma_f16 v79, v27, s17, v71
	v_add_f16_e32 v67, v67, v70
	v_fma_f16 v70, v27, s18, v71
	v_mul_f16_sdwa v71, v27, s19 dst_sel:DWORD dst_unused:UNUSED_PAD src0_sel:WORD_1 src1_sel:DWORD
	v_add_f16_e32 v70, v70, v72
	v_fma_f16 v72, v26, s6, v71
	v_add_f16_e32 v72, v72, v75
	v_mul_f16_sdwa v75, v26, s6 dst_sel:DWORD dst_unused:UNUSED_PAD src0_sel:WORD_1 src1_sel:DWORD
	v_fma_f16 v71, v26, s6, -v71
	v_pk_mul_f16 v26, v26, s2 op_sel_hi:[1,0]
	v_add_f16_e32 v73, v79, v73
	v_fma_f16 v79, v27, s1, v75
	v_add_f16_e32 v71, v71, v74
	v_fma_f16 v74, v27, s19, v75
	v_pk_fma_f16 v75, v27, s16, v26 op_sel:[0,0,1] op_sel_hi:[1,0,0]
	v_pk_fma_f16 v26, v27, s16, v26 op_sel:[0,0,1] op_sel_hi:[1,0,0] neg_lo:[1,0,0] neg_hi:[1,0,0]
	v_pk_add_f16 v27, v28, v60 neg_lo:[0,1] neg_hi:[0,1]
	v_pk_add_f16 v25, v26, v25
	v_pk_add_f16 v26, v60, v28
	v_mul_f16_sdwa v28, v27, s1 dst_sel:DWORD dst_unused:UNUSED_PAD src0_sel:WORD_1 src1_sel:DWORD
	v_fma_f16 v60, v26, s6, v28
	v_add_f16_e32 v60, v60, v62
	v_mul_f16_sdwa v62, v26, s6 dst_sel:DWORD dst_unused:UNUSED_PAD src0_sel:WORD_1 src1_sel:DWORD
	v_fma_f16 v28, v26, s6, -v28
	v_add_f16_e32 v28, v28, v30
	v_fma_f16 v30, v27, s1, v62
	v_add_f16_e32 v30, v30, v61
	v_mul_f16_sdwa v61, v27, s18 dst_sel:DWORD dst_unused:UNUSED_PAD src0_sel:WORD_1 src1_sel:DWORD
	v_add_f16_e32 v74, v74, v76
	v_fma_f16 v76, v27, s19, v62
	v_fma_f16 v62, v26, s12, v61
	v_add_f16_e32 v62, v62, v64
	v_mul_f16_sdwa v64, v26, s12 dst_sel:DWORD dst_unused:UNUSED_PAD src0_sel:WORD_1 src1_sel:DWORD
	v_fma_f16 v61, v26, s12, -v61
	v_add_f16_e32 v65, v76, v65
	v_fma_f16 v76, v27, s17, v64
	v_add_f16_e32 v61, v61, v63
	v_fma_f16 v63, v27, s18, v64
	v_mul_f16_sdwa v64, v27, s13 dst_sel:DWORD dst_unused:UNUSED_PAD src0_sel:WORD_1 src1_sel:DWORD
	v_add_f16_e32 v63, v63, v66
	v_fma_f16 v66, v26, s3, v64
	v_add_f16_e32 v66, v66, v68
	v_mul_f16_sdwa v68, v26, s3 dst_sel:DWORD dst_unused:UNUSED_PAD src0_sel:WORD_1 src1_sel:DWORD
	v_fma_f16 v64, v26, s3, -v64
	v_add_f16_e32 v69, v76, v69
	v_fma_f16 v76, v27, s0, v68
	v_add_f16_e32 v64, v64, v67
	v_fma_f16 v67, v27, s13, v68
	v_mul_f16_sdwa v68, v27, s15 dst_sel:DWORD dst_unused:UNUSED_PAD src0_sel:WORD_1 src1_sel:DWORD
	v_add_f16_e32 v67, v67, v70
	v_fma_f16 v70, v26, s2, v68
	v_add_f16_e32 v70, v70, v72
	v_mul_f16_sdwa v72, v26, s2 dst_sel:DWORD dst_unused:UNUSED_PAD src0_sel:WORD_1 src1_sel:DWORD
	v_fma_f16 v68, v26, s2, -v68
	v_pk_mul_f16 v26, v26, s7 op_sel_hi:[1,0]
	v_add_f16_e32 v73, v76, v73
	v_fma_f16 v76, v27, s16, v72
	v_add_f16_e32 v68, v68, v71
	v_fma_f16 v71, v27, s15, v72
	v_pk_fma_f16 v72, v27, s14, v26 op_sel:[0,0,1] op_sel_hi:[1,0,0]
	v_pk_fma_f16 v26, v27, s14, v26 op_sel:[0,0,1] op_sel_hi:[1,0,0] neg_lo:[1,0,0] neg_hi:[1,0,0]
	v_pk_add_f16 v27, v32, v59 neg_lo:[0,1] neg_hi:[0,1]
	v_pk_add_f16 v25, v26, v25
	v_pk_add_f16 v26, v59, v32
	v_mul_f16_sdwa v32, v27, s14 dst_sel:DWORD dst_unused:UNUSED_PAD src0_sel:WORD_1 src1_sel:DWORD
	v_fma_f16 v59, v26, s7, v32
	v_add_f16_e32 v59, v59, v60
	v_mul_f16_sdwa v60, v26, s7 dst_sel:DWORD dst_unused:UNUSED_PAD src0_sel:WORD_1 src1_sel:DWORD
	v_fma_f16 v32, v26, s7, -v32
	v_add_f16_e32 v28, v32, v28
	v_fma_f16 v32, v27, s14, v60
	v_add_f16_e32 v30, v32, v30
	v_mul_f16_sdwa v32, v27, s19 dst_sel:DWORD dst_unused:UNUSED_PAD src0_sel:WORD_1 src1_sel:DWORD
	v_add_f16_e32 v71, v71, v74
	v_fma_f16 v74, v27, s20, v60
	v_fma_f16 v60, v26, s6, v32
	v_add_f16_e32 v60, v60, v62
	v_mul_f16_sdwa v62, v26, s6 dst_sel:DWORD dst_unused:UNUSED_PAD src0_sel:WORD_1 src1_sel:DWORD
	v_fma_f16 v32, v26, s6, -v32
	v_add_f16_e32 v65, v74, v65
	v_fma_f16 v74, v27, s1, v62
	v_add_f16_e32 v32, v32, v61
	v_fma_f16 v61, v27, s19, v62
	v_mul_f16_sdwa v62, v27, s15 dst_sel:DWORD dst_unused:UNUSED_PAD src0_sel:WORD_1 src1_sel:DWORD
	v_add_f16_e32 v61, v61, v63
	v_fma_f16 v63, v26, s2, v62
	v_add_f16_e32 v63, v63, v66
	v_mul_f16_sdwa v66, v26, s2 dst_sel:DWORD dst_unused:UNUSED_PAD src0_sel:WORD_1 src1_sel:DWORD
	v_fma_f16 v62, v26, s2, -v62
	v_add_f16_e32 v69, v74, v69
	v_fma_f16 v74, v27, s16, v66
	v_add_f16_e32 v62, v62, v64
	v_fma_f16 v64, v27, s15, v66
	v_mul_f16_sdwa v66, v27, s17 dst_sel:DWORD dst_unused:UNUSED_PAD src0_sel:WORD_1 src1_sel:DWORD
	v_add_f16_e32 v64, v64, v67
	v_fma_f16 v67, v26, s12, v66
	v_pk_add_f16 v75, v75, v78
	v_add_f16_e32 v67, v67, v70
	v_mul_f16_sdwa v70, v26, s12 dst_sel:DWORD dst_unused:UNUSED_PAD src0_sel:WORD_1 src1_sel:DWORD
	v_fma_f16 v66, v26, s12, -v66
	v_pk_mul_f16 v26, v26, s3 op_sel_hi:[1,0]
	v_pk_add_f16 v72, v72, v75
	v_add_f16_e32 v73, v74, v73
	v_fma_f16 v74, v27, s18, v70
	v_add_f16_e32 v66, v66, v68
	v_fma_f16 v68, v27, s17, v70
	v_pk_fma_f16 v70, v27, s13, v26 op_sel:[0,0,1] op_sel_hi:[1,0,0]
	v_pk_add_f16 v70, v70, v72
	v_pk_fma_f16 v26, v27, s13, v26 op_sel:[0,0,1] op_sel_hi:[1,0,0] neg_lo:[1,0,0] neg_hi:[1,0,0]
	v_pk_add_f16 v72, v58, v33
	v_pk_add_f16 v33, v33, v58 neg_lo:[0,1] neg_hi:[0,1]
	v_add_f16_e32 v68, v68, v71
	v_pk_add_f16 v71, v26, v25
	v_mul_f16_sdwa v25, v33, s17 dst_sel:DWORD dst_unused:UNUSED_PAD src0_sel:WORD_1 src1_sel:DWORD
	v_fma_f16 v26, v72, s12, v25
	v_add_f16_e32 v75, v26, v59
	v_mul_f16_sdwa v26, v72, s12 dst_sel:DWORD dst_unused:UNUSED_PAD src0_sel:WORD_1 src1_sel:DWORD
	v_fma_f16 v25, v72, s12, -v25
	v_add_f16_e32 v28, v25, v28
	v_fma_f16 v25, v33, s17, v26
	v_add_f16_e32 v58, v25, v30
	v_mul_f16_sdwa v25, v33, s16 dst_sel:DWORD dst_unused:UNUSED_PAD src0_sel:WORD_1 src1_sel:DWORD
	v_fma_f16 v27, v33, s18, v26
	v_fma_f16 v26, v72, s2, v25
	v_add_f16_e32 v30, v26, v60
	v_mul_f16_sdwa v26, v72, s2 dst_sel:DWORD dst_unused:UNUSED_PAD src0_sel:WORD_1 src1_sel:DWORD
	v_add_f16_e32 v65, v27, v65
	v_fma_f16 v27, v33, s15, v26
	v_fma_f16 v25, v72, s2, -v25
	v_add_f16_e32 v69, v27, v69
	v_add_f16_e32 v27, v25, v32
	v_fma_f16 v25, v33, s16, v26
	v_add_f16_e32 v59, v25, v61
	v_mul_f16_sdwa v25, v33, s14 dst_sel:DWORD dst_unused:UNUSED_PAD src0_sel:WORD_1 src1_sel:DWORD
	v_fma_f16 v26, v72, s7, v25
	v_mul_f16_sdwa v60, v72, s7 dst_sel:DWORD dst_unused:UNUSED_PAD src0_sel:WORD_1 src1_sel:DWORD
	v_add_f16_e32 v32, v26, v63
	v_fma_f16 v26, v33, s20, v60
	v_fma_f16 v25, v72, s7, -v25
	v_add_f16_e32 v63, v26, v73
	v_add_f16_e32 v26, v25, v62
	v_fma_f16 v25, v33, s14, v60
	v_add_f16_e32 v61, v25, v64
	v_mul_f16_sdwa v25, v33, s13 dst_sel:DWORD dst_unused:UNUSED_PAD src0_sel:WORD_1 src1_sel:DWORD
	v_add_f16_e32 v77, v79, v77
	v_fma_f16 v60, v72, s3, v25
	v_add_f16_e32 v76, v76, v77
	v_add_f16_e32 v62, v60, v67
	v_mul_f16_sdwa v60, v72, s3 dst_sel:DWORD dst_unused:UNUSED_PAD src0_sel:WORD_1 src1_sel:DWORD
	v_fma_f16 v25, v72, s3, -v25
	v_add_f16_e32 v74, v74, v76
	v_fma_f16 v64, v33, s0, v60
	v_add_f16_e32 v25, v25, v66
	v_pk_mul_f16 v66, v72, s6 op_sel_hi:[1,0]
	v_add_f16_e32 v64, v64, v74
	v_fma_f16 v60, v33, s13, v60
	v_pk_fma_f16 v67, v33, s1, v66 op_sel:[0,0,1] op_sel_hi:[1,0,0]
	v_pk_fma_f16 v33, v33, s1, v66 op_sel:[0,0,1] op_sel_hi:[1,0,0] neg_lo:[1,0,0] neg_hi:[1,0,0]
	s_barrier
	ds_write_b32 v29, v34
	v_pack_b32_f16 v30, v30, v69
	v_pack_b32_f16 v34, v75, v65
	v_pk_add_f16 v67, v67, v70
	v_pk_add_f16 v33, v33, v71
	ds_write2_b32 v29, v34, v30 offset0:1 offset1:2
	v_pack_b32_f16 v30, v62, v64
	v_pack_b32_f16 v32, v32, v63
	v_add_f16_e32 v60, v60, v68
	ds_write2_b32 v29, v32, v30 offset0:3 offset1:4
	v_alignbit_b32 v30, v67, v33, 16
	v_alignbit_b32 v32, v33, v67, 16
	ds_write2_b32 v29, v32, v30 offset0:5 offset1:6
	v_pack_b32_f16 v30, v26, v61
	v_pack_b32_f16 v32, v25, v60
	ds_write2_b32 v29, v32, v30 offset0:7 offset1:8
	v_pack_b32_f16 v30, v28, v58
	v_pack_b32_f16 v32, v27, v59
	ds_write2_b32 v29, v32, v30 offset0:9 offset1:10
	v_add_u32_e32 v32, 0x200, v36
	s_waitcnt lgkmcnt(0)
	s_barrier
	ds_read2_b32 v[29:30], v36 offset1:121
	ds_read2_b32 v[33:34], v32 offset0:114 offset1:235
	ds_read2_b32 v[31:32], v31 offset0:100 offset1:221
	ds_read_b32 v62, v36 offset:2904
	s_and_saveexec_b64 s[0:1], vcc
	s_cbranch_execz .LBB0_7
; %bb.6:
	ds_read2_b32 v[25:26], v36 offset0:77 offset1:198
	ds_read2_b32 v[27:28], v57 offset0:63 offset1:184
	;; [unrolled: 1-line block ×3, first 2 shown]
	ds_read_b32 v53, v36 offset:3212
	s_waitcnt lgkmcnt(3)
	v_lshrrev_b32_e32 v60, 16, v25
	v_lshrrev_b32_e32 v61, 16, v26
	s_waitcnt lgkmcnt(2)
	v_lshrrev_b32_e32 v59, 16, v27
	v_lshrrev_b32_e32 v58, 16, v28
	;; [unrolled: 3-line block ×3, first 2 shown]
	s_waitcnt lgkmcnt(0)
	v_lshrrev_b32_e32 v54, 16, v53
.LBB0_7:
	s_or_b64 exec, exec, s[0:1]
	s_waitcnt lgkmcnt(3)
	v_lshrrev_b32_e32 v56, 16, v30
	v_mul_f16_sdwa v67, v4, v56 dst_sel:DWORD dst_unused:UNUSED_PAD src0_sel:WORD_1 src1_sel:DWORD
	s_waitcnt lgkmcnt(2)
	v_lshrrev_b32_e32 v57, 16, v33
	v_fma_f16 v67, v4, v30, v67
	v_mul_f16_sdwa v30, v4, v30 dst_sel:DWORD dst_unused:UNUSED_PAD src0_sel:WORD_1 src1_sel:DWORD
	v_fma_f16 v4, v4, v56, -v30
	v_mul_f16_sdwa v30, v5, v57 dst_sel:DWORD dst_unused:UNUSED_PAD src0_sel:WORD_1 src1_sel:DWORD
	v_lshrrev_b32_e32 v63, 16, v34
	v_fma_f16 v30, v5, v33, v30
	v_mul_f16_sdwa v33, v5, v33 dst_sel:DWORD dst_unused:UNUSED_PAD src0_sel:WORD_1 src1_sel:DWORD
	v_fma_f16 v5, v5, v57, -v33
	v_mul_f16_sdwa v33, v6, v63 dst_sel:DWORD dst_unused:UNUSED_PAD src0_sel:WORD_1 src1_sel:DWORD
	s_waitcnt lgkmcnt(1)
	v_lshrrev_b32_e32 v64, 16, v31
	v_fma_f16 v33, v6, v34, v33
	v_mul_f16_sdwa v34, v6, v34 dst_sel:DWORD dst_unused:UNUSED_PAD src0_sel:WORD_1 src1_sel:DWORD
	v_fma_f16 v6, v6, v63, -v34
	v_mul_f16_sdwa v34, v7, v64 dst_sel:DWORD dst_unused:UNUSED_PAD src0_sel:WORD_1 src1_sel:DWORD
	v_lshrrev_b32_e32 v65, 16, v32
	v_fma_f16 v34, v7, v31, v34
	v_mul_f16_sdwa v31, v7, v31 dst_sel:DWORD dst_unused:UNUSED_PAD src0_sel:WORD_1 src1_sel:DWORD
	v_fma_f16 v7, v7, v64, -v31
	v_mul_f16_sdwa v31, v19, v65 dst_sel:DWORD dst_unused:UNUSED_PAD src0_sel:WORD_1 src1_sel:DWORD
	s_waitcnt lgkmcnt(0)
	v_lshrrev_b32_e32 v66, 16, v62
	v_fma_f16 v31, v19, v32, v31
	v_mul_f16_sdwa v32, v19, v32 dst_sel:DWORD dst_unused:UNUSED_PAD src0_sel:WORD_1 src1_sel:DWORD
	v_fma_f16 v19, v19, v65, -v32
	v_mul_f16_sdwa v32, v20, v66 dst_sel:DWORD dst_unused:UNUSED_PAD src0_sel:WORD_1 src1_sel:DWORD
	v_mul_f16_sdwa v56, v20, v62 dst_sel:DWORD dst_unused:UNUSED_PAD src0_sel:WORD_1 src1_sel:DWORD
	v_fma_f16 v32, v20, v62, v32
	v_fma_f16 v20, v20, v66, -v56
	v_add_f16_e32 v56, v67, v32
	v_add_f16_e32 v57, v4, v20
	v_sub_f16_e32 v4, v4, v20
	v_add_f16_e32 v20, v30, v31
	v_add_f16_e32 v62, v5, v19
	v_sub_f16_e32 v30, v30, v31
	v_sub_f16_e32 v5, v5, v19
	v_add_f16_e32 v19, v33, v34
	v_add_f16_e32 v31, v6, v7
	v_sub_f16_e32 v33, v34, v33
	;; [unrolled: 4-line block ×3, first 2 shown]
	v_sub_f16_e32 v63, v20, v56
	v_sub_f16_e32 v56, v56, v19
	;; [unrolled: 1-line block ×3, first 2 shown]
	v_add_f16_e32 v65, v33, v30
	v_add_f16_e32 v7, v19, v7
	;; [unrolled: 1-line block ×3, first 2 shown]
	v_sub_f16_e32 v64, v62, v57
	v_sub_f16_e32 v57, v57, v31
	;; [unrolled: 1-line block ×3, first 2 shown]
	v_add_f16_e32 v66, v6, v5
	v_sub_f16_e32 v67, v33, v30
	v_sub_f16_e32 v68, v6, v5
	;; [unrolled: 1-line block ×5, first 2 shown]
	v_add_f16_e32 v31, v65, v32
	v_add_f16_e32 v32, v7, v29
	v_add_f16_sdwa v29, v19, v29 dst_sel:DWORD dst_unused:UNUSED_PAD src0_sel:DWORD src1_sel:WORD_1
	v_sub_f16_e32 v6, v4, v6
	v_add_f16_e32 v4, v66, v4
	v_lshlrev_b32_e32 v34, 16, v29
	v_mul_f16_e32 v56, 0x3a52, v56
	v_mul_f16_e32 v57, 0x3a52, v57
	s_movk_i32 s13, 0x2b26
	v_mul_f16_e32 v65, 0x2b26, v20
	v_mul_f16_e32 v66, 0x2b26, v62
	;; [unrolled: 1-line block ×4, first 2 shown]
	s_mov_b32 s2, 0xbb00
	v_mul_f16_e32 v69, 0xbb00, v30
	v_mul_f16_e32 v70, 0xbb00, v5
	s_mov_b32 s14, 0xbcab
	s_movk_i32 s3, 0x39e0
	s_mov_b32 s6, 0xb9e0
	s_mov_b32 s15, 0xb574
	s_movk_i32 s7, 0x3574
	v_or_b32_e32 v34, v34, v32
	v_fma_f16 v7, v7, s14, v32
	v_fma_f16 v19, v19, s14, v29
	;; [unrolled: 1-line block ×4, first 2 shown]
	v_fma_f16 v32, v63, s3, -v65
	v_fma_f16 v62, v64, s3, -v66
	;; [unrolled: 1-line block ×4, first 2 shown]
	v_fma_f16 v63, v33, s15, v67
	v_fma_f16 v64, v6, s15, v68
	v_fma_f16 v30, v30, s2, -v67
	v_fma_f16 v5, v5, s2, -v68
	;; [unrolled: 1-line block ×4, first 2 shown]
	s_mov_b32 s12, 0xb70e
	v_add_f16_e32 v20, v20, v7
	v_add_f16_e32 v29, v29, v19
	;; [unrolled: 1-line block ×6, first 2 shown]
	v_fma_f16 v56, v31, s12, v63
	v_fma_f16 v57, v4, s12, v64
	;; [unrolled: 1-line block ×6, first 2 shown]
	v_add_f16_e32 v6, v57, v20
	v_sub_f16_e32 v33, v29, v56
	v_add_f16_e32 v63, v4, v7
	v_sub_f16_e32 v65, v32, v5
	v_add_f16_e32 v66, v30, v62
	v_add_f16_e32 v5, v5, v32
	v_sub_f16_e32 v30, v62, v30
	v_sub_f16_e32 v4, v7, v4
	v_add_f16_e32 v7, v31, v19
	v_sub_f16_e32 v64, v19, v31
	v_sub_f16_e32 v19, v20, v57
	v_add_f16_e32 v20, v56, v29
	v_pack_b32_f16 v6, v6, v33
	v_pack_b32_f16 v5, v5, v30
	;; [unrolled: 1-line block ×3, first 2 shown]
	s_barrier
	ds_write2_b32 v55, v34, v6 offset1:11
	v_pack_b32_f16 v6, v63, v64
	v_pack_b32_f16 v29, v65, v66
	ds_write2_b32 v55, v5, v4 offset0:44 offset1:55
	v_pack_b32_f16 v4, v19, v20
	ds_write2_b32 v55, v6, v29 offset0:22 offset1:33
	ds_write_b32 v55, v4 offset:264
	s_and_saveexec_b64 s[0:1], vcc
	s_cbranch_execz .LBB0_9
; %bb.8:
	v_mul_f16_sdwa v31, v17, v51 dst_sel:DWORD dst_unused:UNUSED_PAD src0_sel:WORD_1 src1_sel:DWORD
	v_mul_f16_sdwa v4, v0, v61 dst_sel:DWORD dst_unused:UNUSED_PAD src0_sel:WORD_1 src1_sel:DWORD
	;; [unrolled: 1-line block ×5, first 2 shown]
	v_fma_f16 v31, v17, v24, v31
	v_mul_f16_sdwa v24, v17, v24 dst_sel:DWORD dst_unused:UNUSED_PAD src0_sel:WORD_1 src1_sel:DWORD
	v_fma_f16 v4, v0, v26, v4
	v_fma_f16 v5, v18, v53, v5
	;; [unrolled: 1-line block ×4, first 2 shown]
	v_mul_f16_sdwa v30, v1, v59 dst_sel:DWORD dst_unused:UNUSED_PAD src0_sel:WORD_1 src1_sel:DWORD
	v_mul_f16_sdwa v53, v18, v53 dst_sel:DWORD dst_unused:UNUSED_PAD src0_sel:WORD_1 src1_sel:DWORD
	;; [unrolled: 1-line block ×5, first 2 shown]
	v_fma_f16 v17, v17, v51, -v24
	v_mul_f16_sdwa v24, v1, v27 dst_sel:DWORD dst_unused:UNUSED_PAD src0_sel:WORD_1 src1_sel:DWORD
	v_fma_f16 v30, v1, v27, v30
	v_fma_f16 v18, v18, v54, -v53
	v_fma_f16 v0, v0, v61, -v26
	;; [unrolled: 1-line block ×5, first 2 shown]
	v_add_f16_e32 v26, v18, v0
	v_add_f16_e32 v23, v2, v3
	;; [unrolled: 1-line block ×3, first 2 shown]
	v_sub_f16_e32 v0, v0, v18
	v_sub_f16_e32 v2, v3, v2
	;; [unrolled: 1-line block ×6, first 2 shown]
	v_add_f16_e32 v4, v5, v4
	v_add_f16_e32 v5, v19, v7
	;; [unrolled: 1-line block ×3, first 2 shown]
	v_sub_f16_e32 v3, v0, v2
	v_sub_f16_e32 v17, v2, v1
	v_add_f16_e32 v2, v2, v1
	v_sub_f16_e32 v29, v6, v20
	v_sub_f16_e32 v33, v20, v32
	v_add_f16_e32 v20, v20, v32
	v_add_f16_e32 v52, v24, v26
	;; [unrolled: 1-line block ×4, first 2 shown]
	v_sub_f16_e32 v0, v1, v0
	v_add_f16_e32 v20, v20, v6
	v_sub_f16_e32 v28, v26, v23
	v_sub_f16_e32 v27, v23, v24
	v_add_f16_e32 v23, v23, v52
	v_sub_f16_e32 v7, v4, v5
	v_sub_f16_e32 v30, v5, v19
	v_add_f16_e32 v5, v5, v54
	v_mul_f16_e32 v17, 0x3846, v17
	v_sub_f16_e32 v6, v32, v6
	v_mul_f16_e32 v1, 0xbb00, v0
	v_mul_f16_e32 v33, 0x3846, v33
	;; [unrolled: 1-line block ×4, first 2 shown]
	v_add_f16_e32 v52, v60, v23
	v_mul_f16_e32 v7, 0x3a52, v7
	v_mul_f16_e32 v31, 0x2b26, v30
	v_add_f16_e32 v25, v25, v5
	v_fma_f16 v18, v3, s15, v17
	v_mul_f16_e32 v32, 0xbb00, v6
	v_sub_f16_e32 v24, v24, v26
	v_sub_f16_e32 v4, v19, v4
	v_fma_f16 v1, v3, s7, -v1
	v_fma_f16 v0, v0, s2, -v17
	v_fma_f16 v34, v29, s15, v33
	v_fma_f16 v23, v23, s14, v52
	;; [unrolled: 1-line block ×5, first 2 shown]
	v_fma_f16 v29, v29, s7, -v32
	v_fma_f16 v26, v24, s6, -v28
	;; [unrolled: 1-line block ×3, first 2 shown]
	v_fma_f16 v1, v2, s12, v1
	v_fma_f16 v19, v24, s3, -v51
	v_fma_f16 v6, v6, s2, -v33
	v_fma_f16 v0, v2, s12, v0
	v_fma_f16 v2, v4, s3, -v31
	v_fma_f16 v29, v20, s12, v29
	v_add_f16_e32 v26, v26, v23
	v_add_f16_e32 v7, v7, v5
	;; [unrolled: 1-line block ×3, first 2 shown]
	v_fma_f16 v6, v20, s12, v6
	v_add_f16_e32 v2, v2, v5
	v_mul_u32_u24_e32 v17, 0x4d, v49
	v_fma_f16 v27, v27, s13, v28
	v_add_f16_e32 v30, v30, v5
	v_sub_f16_e32 v3, v7, v1
	v_add_f16_e32 v4, v0, v2
	v_add_f16_e32 v5, v6, v19
	v_sub_f16_e32 v0, v2, v0
	v_sub_f16_e32 v2, v26, v29
	v_add_f16_e32 v1, v1, v7
	v_add_u32_sdwa v17, v17, v50 dst_sel:DWORD dst_unused:UNUSED_PAD src0_sel:DWORD src1_sel:BYTE_0
	v_fma_f16 v34, v20, s12, v34
	v_add_f16_e32 v27, v27, v23
	v_add_f16_e32 v28, v29, v26
	v_sub_f16_e32 v20, v19, v6
	v_lshl_add_u32 v17, v17, 2, v48
	v_pack_b32_f16 v1, v1, v2
	v_pack_b32_f16 v0, v0, v5
	v_add_f16_e32 v53, v34, v27
	v_sub_f16_e32 v54, v30, v18
	v_sub_f16_e32 v6, v27, v34
	v_add_f16_e32 v7, v18, v30
	ds_write2_b32 v17, v1, v0 offset0:22 offset1:33
	v_pack_b32_f16 v0, v4, v20
	v_pack_b32_f16 v1, v3, v28
	;; [unrolled: 1-line block ×4, first 2 shown]
	ds_write2_b32 v17, v0, v1 offset0:44 offset1:55
	v_pack_b32_f16 v0, v54, v53
	ds_write2_b32 v17, v18, v6 offset1:11
	ds_write_b32 v17, v0 offset:264
.LBB0_9:
	s_or_b64 exec, exec, s[0:1]
	s_waitcnt lgkmcnt(0)
	s_barrier
	ds_read2_b32 v[4:5], v36 offset1:77
	ds_read2_b32 v[6:7], v36 offset0:154 offset1:231
	v_add_u32_e32 v3, 0x400, v36
	ds_read2_b32 v[17:18], v3 offset0:52 offset1:129
	v_add_u32_e32 v2, 0x600, v36
	s_waitcnt lgkmcnt(2)
	v_lshrrev_b32_e32 v1, 16, v5
	ds_read2_b32 v[19:20], v2 offset0:78 offset1:155
	v_mul_f16_sdwa v48, v8, v1 dst_sel:DWORD dst_unused:UNUSED_PAD src0_sel:WORD_1 src1_sel:DWORD
	s_waitcnt lgkmcnt(2)
	v_lshrrev_b32_e32 v25, 16, v6
	v_lshrrev_b32_e32 v26, 16, v7
	v_add_u32_e32 v0, 0x800, v36
	v_fma_f16 v48, v8, v5, v48
	v_mul_f16_sdwa v5, v8, v5 dst_sel:DWORD dst_unused:UNUSED_PAD src0_sel:WORD_1 src1_sel:DWORD
	ds_read2_b32 v[23:24], v0 offset0:104 offset1:181
	v_fma_f16 v1, v8, v1, -v5
	v_mul_f16_sdwa v5, v9, v25 dst_sel:DWORD dst_unused:UNUSED_PAD src0_sel:WORD_1 src1_sel:DWORD
	v_mul_f16_sdwa v8, v10, v26 dst_sel:DWORD dst_unused:UNUSED_PAD src0_sel:WORD_1 src1_sel:DWORD
	s_waitcnt lgkmcnt(2)
	v_lshrrev_b32_e32 v27, 16, v17
	v_fma_f16 v5, v9, v6, v5
	v_mul_f16_sdwa v6, v9, v6 dst_sel:DWORD dst_unused:UNUSED_PAD src0_sel:WORD_1 src1_sel:DWORD
	v_fma_f16 v8, v10, v7, v8
	v_mul_f16_sdwa v7, v10, v7 dst_sel:DWORD dst_unused:UNUSED_PAD src0_sel:WORD_1 src1_sel:DWORD
	v_lshrrev_b32_e32 v28, 16, v18
	ds_read_b32 v29, v36 offset:3080
	v_fma_f16 v6, v9, v25, -v6
	v_fma_f16 v7, v10, v26, -v7
	v_mul_f16_sdwa v9, v11, v27 dst_sel:DWORD dst_unused:UNUSED_PAD src0_sel:WORD_1 src1_sel:DWORD
	v_mul_f16_sdwa v10, v11, v17 dst_sel:DWORD dst_unused:UNUSED_PAD src0_sel:WORD_1 src1_sel:DWORD
	s_waitcnt lgkmcnt(2)
	v_lshrrev_b32_e32 v30, 16, v19
	v_fma_f16 v9, v11, v17, v9
	v_fma_f16 v10, v11, v27, -v10
	v_mul_f16_sdwa v11, v12, v28 dst_sel:DWORD dst_unused:UNUSED_PAD src0_sel:WORD_1 src1_sel:DWORD
	v_mul_f16_sdwa v17, v12, v18 dst_sel:DWORD dst_unused:UNUSED_PAD src0_sel:WORD_1 src1_sel:DWORD
	v_lshrrev_b32_e32 v31, 16, v20
	v_fma_f16 v11, v12, v18, v11
	v_fma_f16 v12, v12, v28, -v17
	v_mul_f16_sdwa v17, v13, v30 dst_sel:DWORD dst_unused:UNUSED_PAD src0_sel:WORD_1 src1_sel:DWORD
	v_mul_f16_sdwa v18, v13, v19 dst_sel:DWORD dst_unused:UNUSED_PAD src0_sel:WORD_1 src1_sel:DWORD
	s_waitcnt lgkmcnt(1)
	v_lshrrev_b32_e32 v32, 16, v23
	v_fma_f16 v17, v13, v19, v17
	v_fma_f16 v13, v13, v30, -v18
	v_mul_f16_sdwa v18, v14, v31 dst_sel:DWORD dst_unused:UNUSED_PAD src0_sel:WORD_1 src1_sel:DWORD
	v_mul_f16_sdwa v19, v14, v20 dst_sel:DWORD dst_unused:UNUSED_PAD src0_sel:WORD_1 src1_sel:DWORD
	v_lshrrev_b32_e32 v33, 16, v24
	v_fma_f16 v18, v14, v20, v18
	v_fma_f16 v14, v14, v31, -v19
	v_mul_f16_sdwa v19, v15, v32 dst_sel:DWORD dst_unused:UNUSED_PAD src0_sel:WORD_1 src1_sel:DWORD
	v_mul_f16_sdwa v20, v15, v23 dst_sel:DWORD dst_unused:UNUSED_PAD src0_sel:WORD_1 src1_sel:DWORD
	s_waitcnt lgkmcnt(0)
	v_lshrrev_b32_e32 v34, 16, v29
	v_fma_f16 v19, v15, v23, v19
	v_fma_f16 v15, v15, v32, -v20
	v_mul_f16_sdwa v20, v21, v33 dst_sel:DWORD dst_unused:UNUSED_PAD src0_sel:WORD_1 src1_sel:DWORD
	v_mul_f16_sdwa v23, v21, v24 dst_sel:DWORD dst_unused:UNUSED_PAD src0_sel:WORD_1 src1_sel:DWORD
	v_fma_f16 v20, v21, v24, v20
	v_fma_f16 v21, v21, v33, -v23
	v_mul_f16_sdwa v23, v22, v34 dst_sel:DWORD dst_unused:UNUSED_PAD src0_sel:WORD_1 src1_sel:DWORD
	v_mul_f16_sdwa v24, v22, v29 dst_sel:DWORD dst_unused:UNUSED_PAD src0_sel:WORD_1 src1_sel:DWORD
	v_fma_f16 v23, v22, v29, v23
	v_fma_f16 v22, v22, v34, -v24
	v_add_f16_e32 v24, v48, v4
	v_add_f16_sdwa v25, v1, v4 dst_sel:DWORD dst_unused:UNUSED_PAD src0_sel:DWORD src1_sel:WORD_1
	v_add_f16_e32 v24, v24, v5
	v_add_f16_e32 v25, v25, v6
	;; [unrolled: 1-line block ×17, first 2 shown]
	v_add_f16_sdwa v25, v25, v22 dst_sel:WORD_1 dst_unused:UNUSED_PAD src0_sel:DWORD src1_sel:DWORD
	v_add_f16_e32 v26, v1, v22
	v_sub_f16_e32 v1, v1, v22
	v_or_b32_e32 v24, v25, v24
	v_add_f16_e32 v25, v48, v23
	v_sub_f16_e32 v23, v48, v23
	s_mov_b32 s7, 0xb853
	v_mul_f16_e32 v22, 0xb853, v1
	s_movk_i32 s12, 0x3abb
	v_mul_f16_e32 v28, 0x3abb, v26
	s_movk_i32 s13, 0x3853
	s_mov_b32 s1, 0xbb47
	v_mul_f16_e32 v30, 0xbb47, v1
	s_movk_i32 s2, 0x36a6
	v_mul_f16_e32 v32, 0x36a6, v26
	s_movk_i32 s3, 0x3b47
	s_mov_b32 s0, 0xbbeb
	v_mul_f16_e32 v34, 0xbbeb, v1
	s_mov_b32 s6, 0xb08e
	v_mul_f16_e32 v49, 0xb08e, v26
	s_movk_i32 s14, 0x3beb
	s_mov_b32 s15, 0xba0c
	v_mul_f16_e32 v51, 0xba0c, v1
	s_mov_b32 s16, 0xb93d
	;; [unrolled: 5-line block ×3, first 2 shown]
	v_mul_f16_e32 v26, 0xbbad, v26
	s_movk_i32 s20, 0x3482
	v_fma_f16 v27, v25, s12, v22
	v_fma_f16 v29, v23, s13, v28
	v_fma_f16 v22, v25, s12, -v22
	v_fma_f16 v28, v23, s7, v28
	v_fma_f16 v31, v25, s2, v30
	v_fma_f16 v33, v23, s3, v32
	v_fma_f16 v30, v25, s2, -v30
	v_fma_f16 v32, v23, s1, v32
	;; [unrolled: 4-line block ×5, first 2 shown]
	v_add_f16_e32 v25, v6, v21
	v_sub_f16_e32 v6, v6, v21
	v_add_f16_e32 v27, v27, v4
	v_add_f16_sdwa v29, v29, v4 dst_sel:DWORD dst_unused:UNUSED_PAD src0_sel:DWORD src1_sel:WORD_1
	v_add_f16_e32 v22, v22, v4
	v_add_f16_sdwa v28, v28, v4 dst_sel:DWORD dst_unused:UNUSED_PAD src0_sel:DWORD src1_sel:WORD_1
	;; [unrolled: 2-line block ×10, first 2 shown]
	v_add_f16_e32 v23, v5, v20
	v_sub_f16_e32 v5, v5, v20
	v_mul_f16_e32 v20, 0xbb47, v6
	v_fma_f16 v21, v23, s2, v20
	v_mul_f16_e32 v26, 0x36a6, v25
	v_fma_f16 v20, v23, s2, -v20
	v_add_f16_e32 v21, v21, v27
	v_fma_f16 v27, v5, s3, v26
	v_add_f16_e32 v20, v20, v22
	v_fma_f16 v22, v5, s1, v26
	v_mul_f16_e32 v26, 0xba0c, v6
	v_add_f16_e32 v27, v27, v29
	v_add_f16_e32 v22, v22, v28
	v_fma_f16 v28, v23, s16, v26
	v_mul_f16_e32 v29, 0xb93d, v25
	v_fma_f16 v26, v23, s16, -v26
	v_add_f16_e32 v28, v28, v31
	v_fma_f16 v31, v5, s17, v29
	v_add_f16_e32 v26, v26, v30
	v_fma_f16 v29, v5, s15, v29
	v_mul_f16_e32 v30, 0x3482, v6
	v_add_f16_e32 v31, v31, v33
	v_add_f16_e32 v29, v29, v32
	;; [unrolled: 10-line block ×3, first 2 shown]
	v_fma_f16 v49, v23, s6, v34
	v_mul_f16_e32 v50, 0xb08e, v25
	v_fma_f16 v34, v23, s6, -v34
	v_mul_f16_e32 v6, 0x3853, v6
	v_add_f16_e32 v49, v49, v52
	v_fma_f16 v52, v5, s0, v50
	v_add_f16_e32 v34, v34, v51
	v_fma_f16 v50, v5, s14, v50
	v_fma_f16 v51, v23, s12, v6
	v_mul_f16_e32 v25, 0x3abb, v25
	v_fma_f16 v6, v23, s12, -v6
	v_add_f16_e32 v50, v50, v53
	v_fma_f16 v53, v5, s7, v25
	v_add_f16_e32 v1, v6, v1
	v_fma_f16 v5, v5, s13, v25
	v_add_f16_e32 v6, v7, v15
	v_sub_f16_e32 v7, v7, v15
	v_add_f16_e32 v4, v5, v4
	v_add_f16_e32 v5, v8, v19
	v_mul_f16_e32 v15, 0xbbeb, v7
	v_sub_f16_e32 v8, v8, v19
	v_fma_f16 v19, v5, s6, v15
	v_add_f16_e32 v19, v19, v21
	v_mul_f16_e32 v21, 0xb08e, v6
	v_fma_f16 v15, v5, s6, -v15
	v_fma_f16 v23, v8, s14, v21
	v_add_f16_e32 v15, v15, v20
	v_fma_f16 v20, v8, s0, v21
	v_mul_f16_e32 v21, 0x3482, v7
	v_add_f16_e32 v20, v20, v22
	v_fma_f16 v22, v5, s19, v21
	v_fma_f16 v21, v5, s19, -v21
	v_mul_f16_e32 v25, 0xbbad, v6
	v_add_f16_e32 v21, v21, v26
	v_mul_f16_e32 v26, 0x3b47, v7
	v_add_f16_e32 v23, v23, v27
	v_add_f16_e32 v22, v22, v28
	v_fma_f16 v27, v8, s18, v25
	v_fma_f16 v25, v8, s20, v25
	;; [unrolled: 1-line block ×3, first 2 shown]
	v_fma_f16 v26, v5, s2, -v26
	v_add_f16_e32 v25, v25, v29
	v_mul_f16_e32 v29, 0x36a6, v6
	v_add_f16_e32 v26, v26, v30
	v_mul_f16_e32 v30, 0xb853, v7
	v_add_f16_e32 v27, v27, v31
	v_add_f16_e32 v28, v28, v32
	v_fma_f16 v31, v8, s1, v29
	v_fma_f16 v29, v8, s3, v29
	;; [unrolled: 1-line block ×3, first 2 shown]
	v_fma_f16 v30, v5, s12, -v30
	v_mul_f16_e32 v7, 0xba0c, v7
	v_add_f16_e32 v29, v29, v33
	v_mul_f16_e32 v33, 0x3abb, v6
	v_add_f16_e32 v30, v30, v34
	v_fma_f16 v34, v5, s16, v7
	v_mul_f16_e32 v6, 0xb93d, v6
	v_fma_f16 v5, v5, s16, -v7
	v_add_f16_e32 v31, v31, v48
	v_add_f16_e32 v32, v32, v49
	v_fma_f16 v48, v8, s13, v33
	v_fma_f16 v33, v8, s7, v33
	;; [unrolled: 1-line block ×3, first 2 shown]
	v_add_f16_e32 v1, v5, v1
	v_fma_f16 v5, v8, s15, v6
	v_sub_f16_e32 v8, v10, v14
	v_add_f16_e32 v4, v5, v4
	v_add_f16_e32 v5, v9, v18
	v_sub_f16_e32 v7, v9, v18
	v_mul_f16_e32 v9, 0xba0c, v8
	v_add_f16_e32 v6, v10, v14
	v_fma_f16 v10, v5, s16, v9
	v_fma_f16 v9, v5, s16, -v9
	v_mul_f16_e32 v14, 0xb93d, v6
	v_add_f16_e32 v9, v9, v15
	v_mul_f16_e32 v15, 0x3beb, v8
	v_add_f16_e32 v10, v10, v19
	v_fma_f16 v18, v7, s17, v14
	v_fma_f16 v14, v7, s15, v14
	v_fma_f16 v19, v5, s6, v15
	v_fma_f16 v15, v5, s6, -v15
	v_add_f16_e32 v14, v14, v20
	v_mul_f16_e32 v20, 0xb08e, v6
	v_add_f16_e32 v15, v15, v21
	v_mul_f16_e32 v21, 0xb853, v8
	v_add_f16_e32 v18, v18, v23
	v_add_f16_e32 v19, v19, v22
	v_fma_f16 v22, v7, s0, v20
	v_fma_f16 v20, v7, s14, v20
	;; [unrolled: 1-line block ×3, first 2 shown]
	v_fma_f16 v21, v5, s12, -v21
	v_add_f16_e32 v20, v20, v25
	v_mul_f16_e32 v25, 0x3abb, v6
	v_add_f16_e32 v21, v21, v26
	v_mul_f16_e32 v26, 0xb482, v8
	v_add_f16_e32 v22, v22, v27
	v_add_f16_e32 v23, v23, v28
	v_fma_f16 v27, v7, s13, v25
	v_fma_f16 v25, v7, s7, v25
	;; [unrolled: 1-line block ×3, first 2 shown]
	v_fma_f16 v26, v5, s19, -v26
	v_mul_f16_e32 v8, 0x3b47, v8
	v_add_f16_e32 v25, v25, v29
	v_mul_f16_e32 v29, 0xbbad, v6
	v_add_f16_e32 v26, v26, v30
	v_fma_f16 v30, v5, s2, v8
	v_mul_f16_e32 v6, 0x36a6, v6
	v_fma_f16 v5, v5, s2, -v8
	v_add_f16_e32 v1, v5, v1
	v_fma_f16 v5, v7, s3, v6
	v_sub_f16_e32 v8, v12, v13
	v_add_f16_e32 v27, v27, v31
	v_add_f16_e32 v28, v28, v32
	v_fma_f16 v31, v7, s20, v29
	v_fma_f16 v29, v7, s18, v29
	;; [unrolled: 1-line block ×3, first 2 shown]
	v_add_f16_e32 v4, v5, v4
	v_add_f16_e32 v5, v11, v17
	v_sub_f16_e32 v7, v11, v17
	v_mul_f16_e32 v11, 0xb482, v8
	v_add_f16_e32 v6, v12, v13
	v_fma_f16 v12, v5, s19, v11
	v_add_f16_e32 v10, v12, v10
	v_mul_f16_e32 v12, 0xbbad, v6
	v_fma_f16 v11, v5, s19, -v11
	v_fma_f16 v13, v7, s20, v12
	v_add_f16_e32 v9, v11, v9
	v_fma_f16 v11, v7, s18, v12
	v_mul_f16_e32 v12, 0x3853, v8
	v_add_f16_e32 v11, v11, v14
	v_fma_f16 v14, v5, s12, v12
	v_mul_f16_e32 v17, 0x3abb, v6
	v_fma_f16 v12, v5, s12, -v12
	v_add_f16_e32 v13, v13, v18
	v_fma_f16 v18, v7, s7, v17
	v_add_f16_e32 v12, v12, v15
	v_fma_f16 v15, v7, s13, v17
	v_mul_f16_e32 v17, 0xba0c, v8
	v_add_f16_e32 v14, v14, v19
	v_fma_f16 v19, v5, s16, v17
	v_fma_f16 v17, v5, s16, -v17
	v_add_f16_e32 v15, v15, v20
	v_mul_f16_e32 v20, 0xb93d, v6
	v_add_f16_e32 v17, v17, v21
	v_mul_f16_e32 v21, 0x3b47, v8
	v_add_f16_e32 v18, v18, v22
	v_add_f16_e32 v19, v19, v23
	v_fma_f16 v22, v7, s17, v20
	v_fma_f16 v20, v7, s15, v20
	;; [unrolled: 1-line block ×3, first 2 shown]
	v_fma_f16 v21, v5, s2, -v21
	v_mul_f16_e32 v8, 0xbbeb, v8
	v_add_f16_e32 v33, v33, v50
	v_add_f16_e32 v20, v20, v25
	v_mul_f16_e32 v25, 0x36a6, v6
	v_add_f16_e32 v21, v21, v26
	v_fma_f16 v26, v5, s6, v8
	v_mul_f16_e32 v6, 0xb08e, v6
	v_fma_f16 v5, v5, s6, -v8
	v_add_f16_e32 v52, v52, v54
	v_add_f16_e32 v51, v51, v55
	;; [unrolled: 1-line block ×5, first 2 shown]
	v_fma_f16 v27, v7, s1, v25
	v_fma_f16 v25, v7, s3, v25
	v_add_f16_e32 v1, v5, v1
	v_fma_f16 v5, v7, s0, v6
	v_add_f16_e32 v48, v48, v52
	v_add_f16_e32 v34, v34, v51
	;; [unrolled: 1-line block ×9, first 2 shown]
	v_fma_f16 v28, v7, s14, v6
	v_pack_b32_f16 v5, v10, v13
	v_pack_b32_f16 v1, v1, v4
	;; [unrolled: 1-line block ×3, first 2 shown]
	v_add_f16_e32 v27, v27, v31
	v_add_f16_e32 v26, v26, v30
	;; [unrolled: 1-line block ×3, first 2 shown]
	ds_write2_b32 v36, v24, v5 offset1:77
	v_pack_b32_f16 v5, v14, v18
	v_pack_b32_f16 v6, v19, v22
	ds_write2_b32 v2, v1, v4 offset0:78 offset1:155
	v_pack_b32_f16 v1, v17, v20
	v_pack_b32_f16 v4, v12, v15
	ds_write2_b32 v36, v5, v6 offset0:154 offset1:231
	;; [unrolled: 3-line block ×3, first 2 shown]
	v_pack_b32_f16 v1, v9, v11
	ds_write2_b32 v3, v5, v6 offset0:52 offset1:129
	ds_write_b32 v36, v1 offset:3080
	s_waitcnt lgkmcnt(0)
	s_barrier
	ds_read2_b32 v[4:5], v36 offset1:77
	s_mov_b32 s2, 0xe9078e5b
	s_mov_b32 s3, 0x3f5357f3
	v_mad_u64_u32 v[6:7], s[0:1], s10, v16, 0
	s_waitcnt lgkmcnt(0)
	v_lshrrev_b32_e32 v12, 16, v4
	v_mul_f16_sdwa v1, v47, v12 dst_sel:DWORD dst_unused:UNUSED_PAD src0_sel:WORD_1 src1_sel:DWORD
	v_fma_f16 v1, v47, v4, v1
	v_cvt_f32_f16_e32 v1, v1
	s_movk_i32 s6, 0x1ff
	s_movk_i32 s7, 0xffe
	v_mul_f16_sdwa v4, v47, v4 dst_sel:DWORD dst_unused:UNUSED_PAD src0_sel:WORD_1 src1_sel:DWORD
	v_cvt_f64_f32_e32 v[8:9], v1
	v_mov_b32_e32 v1, v7
	v_mad_u64_u32 v[10:11], s[0:1], s11, v16, v[1:2]
	v_mul_f64 v[8:9], v[8:9], s[2:3]
	v_fma_f16 v4, v47, v12, -v4
	v_mov_b32_e32 v7, v10
	v_cvt_f32_f16_e32 v4, v4
	s_movk_i32 s10, 0x40f
	s_mov_b32 s11, 0x8000
	v_lshlrev_b64 v[6:7], 2, v[6:7]
	v_and_or_b32 v1, v9, s6, v8
	v_cmp_ne_u32_e32 vcc, 0, v1
	v_cndmask_b32_e64 v1, 0, 1, vcc
	v_lshrrev_b32_e32 v8, 8, v9
	v_bfe_u32 v10, v9, 20, 11
	v_and_or_b32 v8, v8, s7, v1
	v_sub_u32_e32 v11, 0x3f1, v10
	v_or_b32_e32 v1, 0x1000, v8
	v_med3_i32 v11, v11, 0, 13
	v_lshrrev_b32_e32 v13, v11, v1
	v_lshlrev_b32_e32 v11, v11, v13
	v_cmp_ne_u32_e32 vcc, v11, v1
	v_cndmask_b32_e64 v1, 0, 1, vcc
	v_or_b32_e32 v1, v13, v1
	v_add_u32_e32 v13, 0xfffffc10, v10
	v_lshl_or_b32 v10, v13, 12, v8
	v_cmp_gt_i32_e32 vcc, 1, v13
	v_cndmask_b32_e32 v1, v10, v1, vcc
	v_and_b32_e32 v10, 7, v1
	v_cmp_lt_i32_e32 vcc, 5, v10
	v_cmp_eq_u32_e64 s[0:1], 3, v10
	v_cvt_f64_f32_e32 v[10:11], v4
	v_lshrrev_b32_e32 v1, 2, v1
	s_or_b64 vcc, s[0:1], vcc
	v_addc_co_u32_e32 v12, vcc, 0, v1, vcc
	v_mul_f64 v[10:11], v[10:11], s[2:3]
	v_mov_b32_e32 v1, 0x7c00
	v_cmp_gt_i32_e32 vcc, 31, v13
	v_cndmask_b32_e32 v4, v1, v12, vcc
	v_cmp_ne_u32_e32 vcc, 0, v8
	v_cndmask_b32_e64 v8, 0, 1, vcc
	v_lshl_or_b32 v8, v8, 9, v1
	v_cmp_eq_u32_e32 vcc, s10, v13
	v_cndmask_b32_e32 v4, v4, v8, vcc
	v_lshrrev_b32_e32 v8, 16, v9
	v_and_or_b32 v12, v8, s11, v4
	v_and_or_b32 v4, v11, s6, v10
	v_cmp_ne_u32_e32 vcc, 0, v4
	v_cndmask_b32_e64 v4, 0, 1, vcc
	v_lshrrev_b32_e32 v8, 8, v11
	v_bfe_u32 v9, v11, 20, 11
	v_and_or_b32 v4, v8, s7, v4
	v_sub_u32_e32 v10, 0x3f1, v9
	v_or_b32_e32 v8, 0x1000, v4
	v_med3_i32 v10, v10, 0, 13
	v_lshrrev_b32_e32 v13, v10, v8
	v_lshlrev_b32_e32 v10, v10, v13
	v_cmp_ne_u32_e32 vcc, v10, v8
	v_cndmask_b32_e64 v8, 0, 1, vcc
	v_add_u32_e32 v10, 0xfffffc10, v9
	v_or_b32_e32 v8, v13, v8
	v_lshl_or_b32 v9, v10, 12, v4
	v_cmp_gt_i32_e32 vcc, 1, v10
	v_cndmask_b32_e32 v8, v9, v8, vcc
	v_and_b32_e32 v9, 7, v8
	v_cmp_lt_i32_e32 vcc, 5, v9
	v_cmp_eq_u32_e64 s[0:1], 3, v9
	v_lshrrev_b32_e32 v8, 2, v8
	s_or_b64 vcc, s[0:1], vcc
	v_addc_co_u32_e32 v8, vcc, 0, v8, vcc
	v_cmp_gt_i32_e32 vcc, 31, v10
	v_cndmask_b32_e32 v13, v1, v8, vcc
	v_mad_u64_u32 v[8:9], s[0:1], s8, v46, 0
	v_cmp_ne_u32_e32 vcc, 0, v4
	v_cndmask_b32_e64 v4, 0, 1, vcc
	v_lshl_or_b32 v4, v4, 9, v1
	v_cmp_eq_u32_e32 vcc, s10, v10
	v_cndmask_b32_e32 v13, v13, v4, vcc
	v_mov_b32_e32 v4, v9
	v_mad_u64_u32 v[9:10], s[0:1], s9, v46, v[4:5]
	v_lshrrev_b32_e32 v4, 16, v5
	v_mul_f16_sdwa v10, v45, v4 dst_sel:DWORD dst_unused:UNUSED_PAD src0_sel:WORD_1 src1_sel:DWORD
	v_fma_f16 v10, v45, v5, v10
	v_cvt_f32_f16_e32 v10, v10
	v_lshrrev_b32_e32 v11, 16, v11
	v_and_or_b32 v13, v11, s11, v13
	v_and_b32_e32 v12, 0xffff, v12
	v_cvt_f64_f32_e32 v[10:11], v10
	v_lshl_or_b32 v12, v13, 16, v12
	v_mov_b32_e32 v13, s5
	v_add_co_u32_e32 v14, vcc, s4, v6
	v_mul_f64 v[10:11], v[10:11], s[2:3]
	v_addc_co_u32_e32 v13, vcc, v13, v7, vcc
	v_lshlrev_b64 v[6:7], 2, v[8:9]
	v_mul_f16_sdwa v5, v45, v5 dst_sel:DWORD dst_unused:UNUSED_PAD src0_sel:WORD_1 src1_sel:DWORD
	v_add_co_u32_e32 v6, vcc, v14, v6
	v_addc_co_u32_e32 v7, vcc, v13, v7, vcc
	v_and_or_b32 v8, v11, s6, v10
	v_cmp_ne_u32_e32 vcc, 0, v8
	v_fma_f16 v4, v45, v4, -v5
	v_cndmask_b32_e64 v8, 0, 1, vcc
	v_lshrrev_b32_e32 v9, 8, v11
	v_bfe_u32 v10, v11, 20, 11
	v_cvt_f32_f16_e32 v4, v4
	global_store_dword v[6:7], v12, off
	v_and_or_b32 v8, v9, s7, v8
	v_sub_u32_e32 v12, 0x3f1, v10
	v_or_b32_e32 v9, 0x1000, v8
	v_med3_i32 v12, v12, 0, 13
	v_lshrrev_b32_e32 v13, v12, v9
	v_lshlrev_b32_e32 v12, v12, v13
	v_cvt_f64_f32_e32 v[4:5], v4
	v_cmp_ne_u32_e32 vcc, v12, v9
	v_cndmask_b32_e64 v9, 0, 1, vcc
	v_add_u32_e32 v10, 0xfffffc10, v10
	v_or_b32_e32 v9, v13, v9
	v_lshl_or_b32 v12, v10, 12, v8
	v_cmp_gt_i32_e32 vcc, 1, v10
	v_cndmask_b32_e32 v9, v12, v9, vcc
	v_mul_f64 v[4:5], v[4:5], s[2:3]
	v_and_b32_e32 v12, 7, v9
	v_cmp_lt_i32_e32 vcc, 5, v12
	v_cmp_eq_u32_e64 s[0:1], 3, v12
	v_lshrrev_b32_e32 v9, 2, v9
	s_or_b64 vcc, s[0:1], vcc
	v_addc_co_u32_e32 v9, vcc, 0, v9, vcc
	v_cmp_gt_i32_e32 vcc, 31, v10
	v_cndmask_b32_e32 v9, v1, v9, vcc
	v_cmp_ne_u32_e32 vcc, 0, v8
	v_cndmask_b32_e64 v8, 0, 1, vcc
	v_lshl_or_b32 v8, v8, 9, v1
	v_cmp_eq_u32_e32 vcc, s10, v10
	v_and_or_b32 v4, v5, s6, v4
	v_cndmask_b32_e32 v8, v9, v8, vcc
	v_lshrrev_b32_e32 v9, 16, v11
	v_cmp_ne_u32_e32 vcc, 0, v4
	v_and_or_b32 v10, v9, s11, v8
	v_cndmask_b32_e64 v4, 0, 1, vcc
	v_lshrrev_b32_e32 v8, 8, v5
	v_bfe_u32 v9, v5, 20, 11
	v_and_or_b32 v4, v8, s7, v4
	v_sub_u32_e32 v11, 0x3f1, v9
	v_or_b32_e32 v8, 0x1000, v4
	v_med3_i32 v11, v11, 0, 13
	v_lshrrev_b32_e32 v12, v11, v8
	v_lshlrev_b32_e32 v11, v11, v12
	v_cmp_ne_u32_e32 vcc, v11, v8
	v_cndmask_b32_e64 v8, 0, 1, vcc
	v_add_u32_e32 v11, 0xfffffc10, v9
	v_or_b32_e32 v8, v12, v8
	v_lshl_or_b32 v9, v11, 12, v4
	v_cmp_gt_i32_e32 vcc, 1, v11
	v_cndmask_b32_e32 v8, v9, v8, vcc
	v_and_b32_e32 v9, 7, v8
	v_cmp_lt_i32_e32 vcc, 5, v9
	v_cmp_eq_u32_e64 s[0:1], 3, v9
	v_lshrrev_b32_e32 v8, 2, v8
	s_or_b64 vcc, s[0:1], vcc
	v_addc_co_u32_e32 v8, vcc, 0, v8, vcc
	v_cmp_gt_i32_e32 vcc, 31, v11
	v_cndmask_b32_e32 v12, v1, v8, vcc
	ds_read2_b32 v[8:9], v36 offset0:154 offset1:231
	v_cmp_ne_u32_e32 vcc, 0, v4
	v_cndmask_b32_e64 v4, 0, 1, vcc
	v_lshl_or_b32 v4, v4, 9, v1
	v_cmp_eq_u32_e32 vcc, s10, v11
	s_waitcnt lgkmcnt(0)
	v_lshrrev_b32_e32 v11, 16, v8
	v_cndmask_b32_e32 v4, v12, v4, vcc
	v_mul_f16_sdwa v12, v44, v11 dst_sel:DWORD dst_unused:UNUSED_PAD src0_sel:WORD_1 src1_sel:DWORD
	v_fma_f16 v12, v44, v8, v12
	v_cvt_f32_f16_e32 v12, v12
	v_lshrrev_b32_e32 v5, 16, v5
	v_and_or_b32 v4, v5, s11, v4
	v_and_b32_e32 v5, 0xffff, v10
	v_lshl_or_b32 v10, v4, 16, v5
	v_cvt_f64_f32_e32 v[4:5], v12
	s_mul_i32 s0, s9, 0x134
	s_mul_hi_u32 s4, s8, 0x134
	s_add_i32 s4, s4, s0
	v_mul_f64 v[4:5], v[4:5], s[2:3]
	s_mul_i32 s5, s8, 0x134
	v_mov_b32_e32 v12, s4
	v_add_co_u32_e32 v6, vcc, s5, v6
	v_addc_co_u32_e32 v7, vcc, v7, v12, vcc
	global_store_dword v[6:7], v10, off
	v_and_or_b32 v4, v5, s6, v4
	v_cmp_ne_u32_e32 vcc, 0, v4
	v_cndmask_b32_e64 v4, 0, 1, vcc
	v_lshrrev_b32_e32 v10, 8, v5
	v_bfe_u32 v12, v5, 20, 11
	v_and_or_b32 v4, v10, s7, v4
	v_sub_u32_e32 v13, 0x3f1, v12
	v_or_b32_e32 v10, 0x1000, v4
	v_med3_i32 v13, v13, 0, 13
	v_lshrrev_b32_e32 v14, v13, v10
	v_lshlrev_b32_e32 v13, v13, v14
	v_mul_f16_sdwa v8, v44, v8 dst_sel:DWORD dst_unused:UNUSED_PAD src0_sel:WORD_1 src1_sel:DWORD
	v_cmp_ne_u32_e32 vcc, v13, v10
	v_fma_f16 v8, v44, v11, -v8
	v_cndmask_b32_e64 v10, 0, 1, vcc
	v_add_u32_e32 v12, 0xfffffc10, v12
	v_cvt_f32_f16_e32 v8, v8
	v_or_b32_e32 v10, v14, v10
	v_lshl_or_b32 v13, v12, 12, v4
	v_cmp_gt_i32_e32 vcc, 1, v12
	v_cndmask_b32_e32 v10, v13, v10, vcc
	v_and_b32_e32 v13, 7, v10
	v_cmp_lt_i32_e32 vcc, 5, v13
	v_cmp_eq_u32_e64 s[0:1], 3, v13
	v_lshrrev_b32_e32 v13, 2, v10
	v_cvt_f64_f32_e32 v[10:11], v8
	s_or_b64 vcc, s[0:1], vcc
	v_addc_co_u32_e32 v8, vcc, 0, v13, vcc
	v_mul_f64 v[10:11], v[10:11], s[2:3]
	v_cmp_gt_i32_e32 vcc, 31, v12
	v_cndmask_b32_e32 v8, v1, v8, vcc
	v_cmp_ne_u32_e32 vcc, 0, v4
	v_cndmask_b32_e64 v4, 0, 1, vcc
	v_lshl_or_b32 v4, v4, 9, v1
	v_cmp_eq_u32_e32 vcc, s10, v12
	v_cndmask_b32_e32 v4, v8, v4, vcc
	v_lshrrev_b32_e32 v5, 16, v5
	v_and_or_b32 v8, v5, s11, v4
	v_and_or_b32 v4, v11, s6, v10
	v_cmp_ne_u32_e32 vcc, 0, v4
	v_cndmask_b32_e64 v4, 0, 1, vcc
	v_lshrrev_b32_e32 v5, 8, v11
	v_bfe_u32 v10, v11, 20, 11
	v_and_or_b32 v4, v5, s7, v4
	v_sub_u32_e32 v12, 0x3f1, v10
	v_or_b32_e32 v5, 0x1000, v4
	v_med3_i32 v12, v12, 0, 13
	v_lshrrev_b32_e32 v13, v12, v5
	v_lshlrev_b32_e32 v12, v12, v13
	v_cmp_ne_u32_e32 vcc, v12, v5
	v_cndmask_b32_e64 v5, 0, 1, vcc
	v_add_u32_e32 v10, 0xfffffc10, v10
	v_or_b32_e32 v5, v13, v5
	v_lshl_or_b32 v12, v10, 12, v4
	v_cmp_gt_i32_e32 vcc, 1, v10
	v_cndmask_b32_e32 v5, v12, v5, vcc
	v_and_b32_e32 v12, 7, v5
	v_cmp_lt_i32_e32 vcc, 5, v12
	v_cmp_eq_u32_e64 s[0:1], 3, v12
	v_lshrrev_b32_e32 v12, 16, v9
	v_lshrrev_b32_e32 v5, 2, v5
	s_or_b64 vcc, s[0:1], vcc
	v_mul_f16_sdwa v13, v43, v12 dst_sel:DWORD dst_unused:UNUSED_PAD src0_sel:WORD_1 src1_sel:DWORD
	v_addc_co_u32_e32 v5, vcc, 0, v5, vcc
	v_fma_f16 v13, v43, v9, v13
	v_cmp_gt_i32_e32 vcc, 31, v10
	v_cvt_f32_f16_e32 v13, v13
	v_cndmask_b32_e32 v5, v1, v5, vcc
	v_cmp_ne_u32_e32 vcc, 0, v4
	v_cndmask_b32_e64 v4, 0, 1, vcc
	v_lshl_or_b32 v4, v4, 9, v1
	v_cmp_eq_u32_e32 vcc, s10, v10
	v_cndmask_b32_e32 v10, v5, v4, vcc
	v_cvt_f64_f32_e32 v[4:5], v13
	v_lshrrev_b32_e32 v11, 16, v11
	v_and_or_b32 v10, v11, s11, v10
	v_and_b32_e32 v8, 0xffff, v8
	v_mul_f64 v[4:5], v[4:5], s[2:3]
	v_lshl_or_b32 v8, v10, 16, v8
	v_mov_b32_e32 v10, s4
	v_add_co_u32_e32 v6, vcc, s5, v6
	v_addc_co_u32_e32 v7, vcc, v7, v10, vcc
	global_store_dword v[6:7], v8, off
	v_and_or_b32 v4, v5, s6, v4
	v_cmp_ne_u32_e32 vcc, 0, v4
	v_cndmask_b32_e64 v4, 0, 1, vcc
	v_lshrrev_b32_e32 v8, 8, v5
	v_bfe_u32 v10, v5, 20, 11
	v_and_or_b32 v4, v8, s7, v4
	v_sub_u32_e32 v11, 0x3f1, v10
	v_or_b32_e32 v8, 0x1000, v4
	v_med3_i32 v11, v11, 0, 13
	v_lshrrev_b32_e32 v13, v11, v8
	v_lshlrev_b32_e32 v11, v11, v13
	v_mul_f16_sdwa v9, v43, v9 dst_sel:DWORD dst_unused:UNUSED_PAD src0_sel:WORD_1 src1_sel:DWORD
	v_cmp_ne_u32_e32 vcc, v11, v8
	v_fma_f16 v9, v43, v12, -v9
	v_cndmask_b32_e64 v8, 0, 1, vcc
	v_add_u32_e32 v10, 0xfffffc10, v10
	v_cvt_f32_f16_e32 v9, v9
	v_or_b32_e32 v8, v13, v8
	v_lshl_or_b32 v11, v10, 12, v4
	v_cmp_gt_i32_e32 vcc, 1, v10
	v_cndmask_b32_e32 v8, v11, v8, vcc
	v_and_b32_e32 v11, 7, v8
	v_cmp_lt_i32_e32 vcc, 5, v11
	v_cmp_eq_u32_e64 s[0:1], 3, v11
	v_lshrrev_b32_e32 v11, 2, v8
	v_cvt_f64_f32_e32 v[8:9], v9
	s_or_b64 vcc, s[0:1], vcc
	v_addc_co_u32_e32 v11, vcc, 0, v11, vcc
	v_mul_f64 v[8:9], v[8:9], s[2:3]
	v_cmp_gt_i32_e32 vcc, 31, v10
	v_cndmask_b32_e32 v11, v1, v11, vcc
	v_cmp_ne_u32_e32 vcc, 0, v4
	v_cndmask_b32_e64 v4, 0, 1, vcc
	v_lshl_or_b32 v4, v4, 9, v1
	v_cmp_eq_u32_e32 vcc, s10, v10
	v_cndmask_b32_e32 v4, v11, v4, vcc
	v_lshrrev_b32_e32 v5, 16, v5
	v_and_or_b32 v5, v5, s11, v4
	v_and_or_b32 v4, v9, s6, v8
	v_cmp_ne_u32_e32 vcc, 0, v4
	v_cndmask_b32_e64 v4, 0, 1, vcc
	v_lshrrev_b32_e32 v8, 8, v9
	v_bfe_u32 v10, v9, 20, 11
	v_and_or_b32 v8, v8, s7, v4
	v_sub_u32_e32 v11, 0x3f1, v10
	v_or_b32_e32 v4, 0x1000, v8
	v_med3_i32 v11, v11, 0, 13
	v_lshrrev_b32_e32 v12, v11, v4
	v_lshlrev_b32_e32 v11, v11, v12
	v_cmp_ne_u32_e32 vcc, v11, v4
	v_cndmask_b32_e64 v4, 0, 1, vcc
	v_add_u32_e32 v10, 0xfffffc10, v10
	v_or_b32_e32 v4, v12, v4
	v_lshl_or_b32 v11, v10, 12, v8
	v_cmp_gt_i32_e32 vcc, 1, v10
	v_cndmask_b32_e32 v4, v11, v4, vcc
	v_and_b32_e32 v11, 7, v4
	v_cmp_lt_i32_e32 vcc, 5, v11
	v_cmp_eq_u32_e64 s[0:1], 3, v11
	v_lshrrev_b32_e32 v4, 2, v4
	s_or_b64 vcc, s[0:1], vcc
	v_addc_co_u32_e32 v11, vcc, 0, v4, vcc
	ds_read2_b32 v[3:4], v3 offset0:52 offset1:129
	v_cmp_gt_i32_e32 vcc, 31, v10
	v_cndmask_b32_e32 v11, v1, v11, vcc
	v_cmp_ne_u32_e32 vcc, 0, v8
	v_cndmask_b32_e64 v8, 0, 1, vcc
	s_waitcnt lgkmcnt(0)
	v_lshrrev_b32_e32 v12, 16, v3
	v_mul_f16_sdwa v13, v42, v12 dst_sel:DWORD dst_unused:UNUSED_PAD src0_sel:WORD_1 src1_sel:DWORD
	v_fma_f16 v13, v42, v3, v13
	v_cvt_f32_f16_e32 v13, v13
	v_lshl_or_b32 v8, v8, 9, v1
	v_cmp_eq_u32_e32 vcc, s10, v10
	v_cndmask_b32_e32 v8, v11, v8, vcc
	v_cvt_f64_f32_e32 v[10:11], v13
	v_lshrrev_b32_e32 v9, 16, v9
	v_and_or_b32 v13, v9, s11, v8
	v_and_b32_e32 v5, 0xffff, v5
	v_mul_f64 v[8:9], v[10:11], s[2:3]
	v_lshl_or_b32 v10, v13, 16, v5
	v_mov_b32_e32 v11, s4
	v_add_co_u32_e32 v5, vcc, s5, v6
	v_addc_co_u32_e32 v6, vcc, v7, v11, vcc
	global_store_dword v[5:6], v10, off
	v_and_or_b32 v7, v9, s6, v8
	v_cmp_ne_u32_e32 vcc, 0, v7
	v_cndmask_b32_e64 v7, 0, 1, vcc
	v_lshrrev_b32_e32 v8, 8, v9
	v_and_or_b32 v10, v8, s7, v7
	v_bfe_u32 v8, v9, 20, 11
	v_sub_u32_e32 v11, 0x3f1, v8
	v_or_b32_e32 v7, 0x1000, v10
	v_med3_i32 v11, v11, 0, 13
	v_lshrrev_b32_e32 v13, v11, v7
	v_lshlrev_b32_e32 v11, v11, v13
	v_mul_f16_sdwa v3, v42, v3 dst_sel:DWORD dst_unused:UNUSED_PAD src0_sel:WORD_1 src1_sel:DWORD
	v_cmp_ne_u32_e32 vcc, v11, v7
	v_fma_f16 v3, v42, v12, -v3
	v_cndmask_b32_e64 v7, 0, 1, vcc
	v_add_u32_e32 v11, 0xfffffc10, v8
	v_cvt_f32_f16_e32 v3, v3
	v_or_b32_e32 v7, v13, v7
	v_lshl_or_b32 v8, v11, 12, v10
	v_cmp_gt_i32_e32 vcc, 1, v11
	v_cndmask_b32_e32 v7, v8, v7, vcc
	v_and_b32_e32 v8, 7, v7
	v_cmp_lt_i32_e32 vcc, 5, v8
	v_cmp_eq_u32_e64 s[0:1], 3, v8
	v_lshrrev_b32_e32 v12, 2, v7
	v_cvt_f64_f32_e32 v[7:8], v3
	s_or_b64 vcc, s[0:1], vcc
	v_addc_co_u32_e32 v3, vcc, 0, v12, vcc
	v_mul_f64 v[7:8], v[7:8], s[2:3]
	v_cmp_gt_i32_e32 vcc, 31, v11
	v_cndmask_b32_e32 v3, v1, v3, vcc
	v_cmp_ne_u32_e32 vcc, 0, v10
	v_cndmask_b32_e64 v10, 0, 1, vcc
	v_lshl_or_b32 v10, v10, 9, v1
	v_cmp_eq_u32_e32 vcc, s10, v11
	v_cndmask_b32_e32 v3, v3, v10, vcc
	v_and_or_b32 v7, v8, s6, v7
	v_lshrrev_b32_e32 v9, 16, v9
	v_cmp_ne_u32_e32 vcc, 0, v7
	v_and_or_b32 v3, v9, s11, v3
	v_cndmask_b32_e64 v7, 0, 1, vcc
	v_lshrrev_b32_e32 v9, 8, v8
	v_bfe_u32 v10, v8, 20, 11
	v_and_or_b32 v7, v9, s7, v7
	v_sub_u32_e32 v11, 0x3f1, v10
	v_or_b32_e32 v9, 0x1000, v7
	v_med3_i32 v11, v11, 0, 13
	v_lshrrev_b32_e32 v12, v11, v9
	v_lshlrev_b32_e32 v11, v11, v12
	v_cmp_ne_u32_e32 vcc, v11, v9
	v_cndmask_b32_e64 v9, 0, 1, vcc
	v_add_u32_e32 v10, 0xfffffc10, v10
	v_or_b32_e32 v9, v12, v9
	v_lshl_or_b32 v11, v10, 12, v7
	v_cmp_gt_i32_e32 vcc, 1, v10
	v_cndmask_b32_e32 v9, v11, v9, vcc
	v_and_b32_e32 v11, 7, v9
	v_cmp_lt_i32_e32 vcc, 5, v11
	v_cmp_eq_u32_e64 s[0:1], 3, v11
	v_lshrrev_b32_e32 v11, 16, v4
	v_lshrrev_b32_e32 v9, 2, v9
	s_or_b64 vcc, s[0:1], vcc
	v_mul_f16_sdwa v12, v41, v11 dst_sel:DWORD dst_unused:UNUSED_PAD src0_sel:WORD_1 src1_sel:DWORD
	v_addc_co_u32_e32 v9, vcc, 0, v9, vcc
	v_fma_f16 v12, v41, v4, v12
	v_cmp_gt_i32_e32 vcc, 31, v10
	v_cvt_f32_f16_e32 v12, v12
	v_cndmask_b32_e32 v9, v1, v9, vcc
	v_cmp_ne_u32_e32 vcc, 0, v7
	v_cndmask_b32_e64 v7, 0, 1, vcc
	v_lshl_or_b32 v7, v7, 9, v1
	v_cmp_eq_u32_e32 vcc, s10, v10
	v_cndmask_b32_e32 v7, v9, v7, vcc
	v_cvt_f64_f32_e32 v[9:10], v12
	v_lshrrev_b32_e32 v8, 16, v8
	v_and_or_b32 v12, v8, s11, v7
	v_and_b32_e32 v3, 0xffff, v3
	v_mul_f64 v[7:8], v[9:10], s[2:3]
	v_mov_b32_e32 v9, s4
	v_add_co_u32_e32 v5, vcc, s5, v5
	v_lshl_or_b32 v3, v12, 16, v3
	v_addc_co_u32_e32 v6, vcc, v6, v9, vcc
	global_store_dword v[5:6], v3, off
	v_and_or_b32 v3, v8, s6, v7
	v_cmp_ne_u32_e32 vcc, 0, v3
	v_cndmask_b32_e64 v3, 0, 1, vcc
	v_lshrrev_b32_e32 v7, 8, v8
	v_bfe_u32 v9, v8, 20, 11
	v_and_or_b32 v7, v7, s7, v3
	v_sub_u32_e32 v10, 0x3f1, v9
	v_or_b32_e32 v3, 0x1000, v7
	v_med3_i32 v10, v10, 0, 13
	v_lshrrev_b32_e32 v12, v10, v3
	v_lshlrev_b32_e32 v10, v10, v12
	v_mul_f16_sdwa v4, v41, v4 dst_sel:DWORD dst_unused:UNUSED_PAD src0_sel:WORD_1 src1_sel:DWORD
	v_cmp_ne_u32_e32 vcc, v10, v3
	v_fma_f16 v4, v41, v11, -v4
	v_cndmask_b32_e64 v3, 0, 1, vcc
	v_add_u32_e32 v9, 0xfffffc10, v9
	v_cvt_f32_f16_e32 v4, v4
	v_or_b32_e32 v3, v12, v3
	v_lshl_or_b32 v10, v9, 12, v7
	v_cmp_gt_i32_e32 vcc, 1, v9
	v_cndmask_b32_e32 v3, v10, v3, vcc
	v_and_b32_e32 v10, 7, v3
	v_cmp_lt_i32_e32 vcc, 5, v10
	v_cmp_eq_u32_e64 s[0:1], 3, v10
	v_lshrrev_b32_e32 v10, 2, v3
	v_cvt_f64_f32_e32 v[3:4], v4
	s_or_b64 vcc, s[0:1], vcc
	v_addc_co_u32_e32 v10, vcc, 0, v10, vcc
	v_mul_f64 v[3:4], v[3:4], s[2:3]
	v_cmp_gt_i32_e32 vcc, 31, v9
	v_cndmask_b32_e32 v10, v1, v10, vcc
	v_cmp_ne_u32_e32 vcc, 0, v7
	v_cndmask_b32_e64 v7, 0, 1, vcc
	v_lshl_or_b32 v7, v7, 9, v1
	v_cmp_eq_u32_e32 vcc, s10, v9
	v_cndmask_b32_e32 v7, v10, v7, vcc
	v_and_or_b32 v3, v4, s6, v3
	v_lshrrev_b32_e32 v8, 16, v8
	v_cmp_ne_u32_e32 vcc, 0, v3
	v_and_or_b32 v9, v8, s11, v7
	v_cndmask_b32_e64 v3, 0, 1, vcc
	v_lshrrev_b32_e32 v7, 8, v4
	v_bfe_u32 v8, v4, 20, 11
	v_and_or_b32 v7, v7, s7, v3
	v_sub_u32_e32 v10, 0x3f1, v8
	v_or_b32_e32 v3, 0x1000, v7
	v_med3_i32 v10, v10, 0, 13
	v_lshrrev_b32_e32 v11, v10, v3
	v_lshlrev_b32_e32 v10, v10, v11
	v_cmp_ne_u32_e32 vcc, v10, v3
	v_cndmask_b32_e64 v3, 0, 1, vcc
	v_add_u32_e32 v8, 0xfffffc10, v8
	v_or_b32_e32 v3, v11, v3
	v_lshl_or_b32 v10, v8, 12, v7
	v_cmp_gt_i32_e32 vcc, 1, v8
	v_cndmask_b32_e32 v3, v10, v3, vcc
	v_and_b32_e32 v10, 7, v3
	v_cmp_lt_i32_e32 vcc, 5, v10
	v_cmp_eq_u32_e64 s[0:1], 3, v10
	v_lshrrev_b32_e32 v3, 2, v3
	s_or_b64 vcc, s[0:1], vcc
	v_addc_co_u32_e32 v10, vcc, 0, v3, vcc
	ds_read2_b32 v[2:3], v2 offset0:78 offset1:155
	v_cmp_gt_i32_e32 vcc, 31, v8
	v_cndmask_b32_e32 v10, v1, v10, vcc
	v_cmp_ne_u32_e32 vcc, 0, v7
	v_cndmask_b32_e64 v7, 0, 1, vcc
	s_waitcnt lgkmcnt(0)
	v_lshrrev_b32_e32 v11, 16, v2
	v_mul_f16_sdwa v12, v40, v11 dst_sel:DWORD dst_unused:UNUSED_PAD src0_sel:WORD_1 src1_sel:DWORD
	v_fma_f16 v12, v40, v2, v12
	v_cvt_f32_f16_e32 v12, v12
	v_lshl_or_b32 v7, v7, 9, v1
	v_cmp_eq_u32_e32 vcc, s10, v8
	v_cndmask_b32_e32 v10, v10, v7, vcc
	v_cvt_f64_f32_e32 v[7:8], v12
	v_lshrrev_b32_e32 v4, 16, v4
	v_and_or_b32 v4, v4, s11, v10
	v_and_b32_e32 v9, 0xffff, v9
	v_mul_f64 v[7:8], v[7:8], s[2:3]
	v_lshl_or_b32 v9, v4, 16, v9
	v_mov_b32_e32 v10, s4
	v_add_co_u32_e32 v4, vcc, s5, v5
	v_addc_co_u32_e32 v5, vcc, v6, v10, vcc
	global_store_dword v[4:5], v9, off
	v_and_or_b32 v6, v8, s6, v7
	v_cmp_ne_u32_e32 vcc, 0, v6
	v_cndmask_b32_e64 v6, 0, 1, vcc
	v_lshrrev_b32_e32 v7, 8, v8
	v_and_or_b32 v9, v7, s7, v6
	v_bfe_u32 v7, v8, 20, 11
	v_sub_u32_e32 v10, 0x3f1, v7
	v_or_b32_e32 v6, 0x1000, v9
	v_med3_i32 v10, v10, 0, 13
	v_lshrrev_b32_e32 v12, v10, v6
	v_lshlrev_b32_e32 v10, v10, v12
	v_mul_f16_sdwa v2, v40, v2 dst_sel:DWORD dst_unused:UNUSED_PAD src0_sel:WORD_1 src1_sel:DWORD
	v_cmp_ne_u32_e32 vcc, v10, v6
	v_fma_f16 v2, v40, v11, -v2
	v_cndmask_b32_e64 v6, 0, 1, vcc
	v_add_u32_e32 v10, 0xfffffc10, v7
	v_cvt_f32_f16_e32 v2, v2
	v_or_b32_e32 v6, v12, v6
	v_lshl_or_b32 v7, v10, 12, v9
	v_cmp_gt_i32_e32 vcc, 1, v10
	v_cndmask_b32_e32 v6, v7, v6, vcc
	v_and_b32_e32 v7, 7, v6
	v_cmp_lt_i32_e32 vcc, 5, v7
	v_cmp_eq_u32_e64 s[0:1], 3, v7
	v_lshrrev_b32_e32 v11, 2, v6
	v_cvt_f64_f32_e32 v[6:7], v2
	s_or_b64 vcc, s[0:1], vcc
	v_addc_co_u32_e32 v2, vcc, 0, v11, vcc
	v_mul_f64 v[6:7], v[6:7], s[2:3]
	v_cmp_gt_i32_e32 vcc, 31, v10
	v_cndmask_b32_e32 v2, v1, v2, vcc
	v_cmp_ne_u32_e32 vcc, 0, v9
	v_cndmask_b32_e64 v9, 0, 1, vcc
	v_lshl_or_b32 v9, v9, 9, v1
	v_cmp_eq_u32_e32 vcc, s10, v10
	v_cndmask_b32_e32 v2, v2, v9, vcc
	v_and_or_b32 v6, v7, s6, v6
	v_lshrrev_b32_e32 v8, 16, v8
	v_cmp_ne_u32_e32 vcc, 0, v6
	v_and_or_b32 v2, v8, s11, v2
	v_cndmask_b32_e64 v6, 0, 1, vcc
	v_lshrrev_b32_e32 v8, 8, v7
	v_bfe_u32 v9, v7, 20, 11
	v_and_or_b32 v6, v8, s7, v6
	v_sub_u32_e32 v10, 0x3f1, v9
	v_or_b32_e32 v8, 0x1000, v6
	v_med3_i32 v10, v10, 0, 13
	v_lshrrev_b32_e32 v11, v10, v8
	v_lshlrev_b32_e32 v10, v10, v11
	v_cmp_ne_u32_e32 vcc, v10, v8
	v_cndmask_b32_e64 v8, 0, 1, vcc
	v_add_u32_e32 v9, 0xfffffc10, v9
	v_or_b32_e32 v8, v11, v8
	v_lshl_or_b32 v10, v9, 12, v6
	v_cmp_gt_i32_e32 vcc, 1, v9
	v_cndmask_b32_e32 v8, v10, v8, vcc
	v_and_b32_e32 v10, 7, v8
	v_cmp_lt_i32_e32 vcc, 5, v10
	v_cmp_eq_u32_e64 s[0:1], 3, v10
	v_lshrrev_b32_e32 v10, 16, v3
	v_lshrrev_b32_e32 v8, 2, v8
	s_or_b64 vcc, s[0:1], vcc
	v_mul_f16_sdwa v11, v39, v10 dst_sel:DWORD dst_unused:UNUSED_PAD src0_sel:WORD_1 src1_sel:DWORD
	v_addc_co_u32_e32 v8, vcc, 0, v8, vcc
	v_fma_f16 v11, v39, v3, v11
	v_cmp_gt_i32_e32 vcc, 31, v9
	v_cvt_f32_f16_e32 v11, v11
	v_cndmask_b32_e32 v8, v1, v8, vcc
	v_cmp_ne_u32_e32 vcc, 0, v6
	v_cndmask_b32_e64 v6, 0, 1, vcc
	v_lshl_or_b32 v6, v6, 9, v1
	v_cmp_eq_u32_e32 vcc, s10, v9
	v_cndmask_b32_e32 v6, v8, v6, vcc
	v_cvt_f64_f32_e32 v[8:9], v11
	v_lshrrev_b32_e32 v7, 16, v7
	v_and_or_b32 v11, v7, s11, v6
	v_and_b32_e32 v2, 0xffff, v2
	v_mul_f64 v[6:7], v[8:9], s[2:3]
	v_mov_b32_e32 v8, s4
	v_add_co_u32_e32 v4, vcc, s5, v4
	v_lshl_or_b32 v2, v11, 16, v2
	v_addc_co_u32_e32 v5, vcc, v5, v8, vcc
	global_store_dword v[4:5], v2, off
	v_and_or_b32 v2, v7, s6, v6
	v_cmp_ne_u32_e32 vcc, 0, v2
	v_cndmask_b32_e64 v2, 0, 1, vcc
	v_lshrrev_b32_e32 v6, 8, v7
	v_bfe_u32 v8, v7, 20, 11
	v_and_or_b32 v6, v6, s7, v2
	v_sub_u32_e32 v9, 0x3f1, v8
	v_or_b32_e32 v2, 0x1000, v6
	v_med3_i32 v9, v9, 0, 13
	v_lshrrev_b32_e32 v11, v9, v2
	v_lshlrev_b32_e32 v9, v9, v11
	v_mul_f16_sdwa v3, v39, v3 dst_sel:DWORD dst_unused:UNUSED_PAD src0_sel:WORD_1 src1_sel:DWORD
	v_cmp_ne_u32_e32 vcc, v9, v2
	v_fma_f16 v3, v39, v10, -v3
	v_cndmask_b32_e64 v2, 0, 1, vcc
	v_add_u32_e32 v8, 0xfffffc10, v8
	v_cvt_f32_f16_e32 v3, v3
	v_or_b32_e32 v2, v11, v2
	v_lshl_or_b32 v9, v8, 12, v6
	v_cmp_gt_i32_e32 vcc, 1, v8
	v_cndmask_b32_e32 v2, v9, v2, vcc
	v_and_b32_e32 v9, 7, v2
	v_cmp_lt_i32_e32 vcc, 5, v9
	v_cmp_eq_u32_e64 s[0:1], 3, v9
	v_lshrrev_b32_e32 v9, 2, v2
	v_cvt_f64_f32_e32 v[2:3], v3
	s_or_b64 vcc, s[0:1], vcc
	v_addc_co_u32_e32 v9, vcc, 0, v9, vcc
	v_mul_f64 v[2:3], v[2:3], s[2:3]
	v_cmp_gt_i32_e32 vcc, 31, v8
	v_cndmask_b32_e32 v9, v1, v9, vcc
	v_cmp_ne_u32_e32 vcc, 0, v6
	v_cndmask_b32_e64 v6, 0, 1, vcc
	v_lshl_or_b32 v6, v6, 9, v1
	v_cmp_eq_u32_e32 vcc, s10, v8
	v_cndmask_b32_e32 v6, v9, v6, vcc
	v_and_or_b32 v2, v3, s6, v2
	v_lshrrev_b32_e32 v7, 16, v7
	v_cmp_ne_u32_e32 vcc, 0, v2
	v_and_or_b32 v10, v7, s11, v6
	v_cndmask_b32_e64 v2, 0, 1, vcc
	v_lshrrev_b32_e32 v6, 8, v3
	v_bfe_u32 v7, v3, 20, 11
	v_and_or_b32 v2, v6, s7, v2
	v_sub_u32_e32 v8, 0x3f1, v7
	v_or_b32_e32 v6, 0x1000, v2
	v_med3_i32 v8, v8, 0, 13
	v_lshrrev_b32_e32 v9, v8, v6
	v_lshlrev_b32_e32 v8, v8, v9
	v_cmp_ne_u32_e32 vcc, v8, v6
	v_cndmask_b32_e64 v6, 0, 1, vcc
	v_add_u32_e32 v8, 0xfffffc10, v7
	v_or_b32_e32 v6, v9, v6
	v_lshl_or_b32 v7, v8, 12, v2
	v_cmp_gt_i32_e32 vcc, 1, v8
	v_cndmask_b32_e32 v6, v7, v6, vcc
	v_and_b32_e32 v7, 7, v6
	v_cmp_lt_i32_e32 vcc, 5, v7
	v_cmp_eq_u32_e64 s[0:1], 3, v7
	v_lshrrev_b32_e32 v6, 2, v6
	s_or_b64 vcc, s[0:1], vcc
	v_addc_co_u32_e32 v9, vcc, 0, v6, vcc
	ds_read2_b32 v[6:7], v0 offset0:104 offset1:181
	v_cmp_gt_i32_e32 vcc, 31, v8
	v_cndmask_b32_e32 v0, v1, v9, vcc
	v_cmp_ne_u32_e32 vcc, 0, v2
	v_cndmask_b32_e64 v2, 0, 1, vcc
	s_waitcnt lgkmcnt(0)
	v_lshrrev_b32_e32 v11, 16, v6
	v_mul_f16_sdwa v9, v38, v11 dst_sel:DWORD dst_unused:UNUSED_PAD src0_sel:WORD_1 src1_sel:DWORD
	v_fma_f16 v9, v38, v6, v9
	v_cvt_f32_f16_e32 v9, v9
	v_cmp_eq_u32_e32 vcc, s10, v8
	v_lshl_or_b32 v2, v2, 9, v1
	v_cndmask_b32_e32 v0, v0, v2, vcc
	v_cvt_f64_f32_e32 v[8:9], v9
	v_lshrrev_b32_e32 v2, 16, v3
	v_and_or_b32 v0, v2, s11, v0
	v_and_b32_e32 v10, 0xffff, v10
	v_mul_f64 v[2:3], v[8:9], s[2:3]
	v_mov_b32_e32 v8, s4
	v_add_co_u32_e32 v4, vcc, s5, v4
	v_lshl_or_b32 v0, v0, 16, v10
	v_addc_co_u32_e32 v5, vcc, v5, v8, vcc
	global_store_dword v[4:5], v0, off
	v_and_or_b32 v0, v3, s6, v2
	v_cmp_ne_u32_e32 vcc, 0, v0
	v_cndmask_b32_e64 v0, 0, 1, vcc
	v_lshrrev_b32_e32 v2, 8, v3
	v_bfe_u32 v8, v3, 20, 11
	v_and_or_b32 v0, v2, s7, v0
	v_sub_u32_e32 v9, 0x3f1, v8
	v_or_b32_e32 v2, 0x1000, v0
	v_med3_i32 v9, v9, 0, 13
	v_lshrrev_b32_e32 v10, v9, v2
	v_lshlrev_b32_e32 v9, v9, v10
	v_cmp_ne_u32_e32 vcc, v9, v2
	v_mul_f16_sdwa v6, v38, v6 dst_sel:DWORD dst_unused:UNUSED_PAD src0_sel:WORD_1 src1_sel:DWORD
	v_cndmask_b32_e64 v2, 0, 1, vcc
	v_fma_f16 v6, v38, v11, -v6
	v_or_b32_e32 v2, v10, v2
	v_add_u32_e32 v10, 0xfffffc10, v8
	v_cvt_f32_f16_e32 v6, v6
	v_lshl_or_b32 v8, v10, 12, v0
	v_cmp_gt_i32_e32 vcc, 1, v10
	v_cndmask_b32_e32 v2, v8, v2, vcc
	v_and_b32_e32 v8, 7, v2
	v_cmp_lt_i32_e32 vcc, 5, v8
	v_cmp_eq_u32_e64 s[0:1], 3, v8
	v_cvt_f64_f32_e32 v[8:9], v6
	v_lshrrev_b32_e32 v2, 2, v2
	s_or_b64 vcc, s[0:1], vcc
	v_addc_co_u32_e32 v2, vcc, 0, v2, vcc
	v_mul_f64 v[8:9], v[8:9], s[2:3]
	v_cmp_gt_i32_e32 vcc, 31, v10
	v_cndmask_b32_e32 v2, v1, v2, vcc
	v_cmp_ne_u32_e32 vcc, 0, v0
	v_cndmask_b32_e64 v0, 0, 1, vcc
	v_lshl_or_b32 v0, v0, 9, v1
	v_cmp_eq_u32_e32 vcc, s10, v10
	v_cndmask_b32_e32 v0, v2, v0, vcc
	v_lshrrev_b32_e32 v2, 16, v3
	v_and_or_b32 v0, v2, s11, v0
	v_and_or_b32 v2, v9, s6, v8
	v_cmp_ne_u32_e32 vcc, 0, v2
	v_cndmask_b32_e64 v2, 0, 1, vcc
	v_lshrrev_b32_e32 v3, 8, v9
	v_bfe_u32 v6, v9, 20, 11
	v_and_or_b32 v2, v3, s7, v2
	v_sub_u32_e32 v8, 0x3f1, v6
	v_or_b32_e32 v3, 0x1000, v2
	v_med3_i32 v8, v8, 0, 13
	v_lshrrev_b32_e32 v10, v8, v3
	v_lshlrev_b32_e32 v8, v8, v10
	v_cmp_ne_u32_e32 vcc, v8, v3
	v_cndmask_b32_e64 v3, 0, 1, vcc
	v_add_u32_e32 v6, 0xfffffc10, v6
	v_or_b32_e32 v3, v10, v3
	v_lshl_or_b32 v8, v6, 12, v2
	v_cmp_gt_i32_e32 vcc, 1, v6
	v_cndmask_b32_e32 v3, v8, v3, vcc
	v_and_b32_e32 v8, 7, v3
	v_cmp_lt_i32_e32 vcc, 5, v8
	v_cmp_eq_u32_e64 s[0:1], 3, v8
	v_lshrrev_b32_e32 v8, 16, v7
	v_lshrrev_b32_e32 v3, 2, v3
	s_or_b64 vcc, s[0:1], vcc
	v_mul_f16_sdwa v10, v37, v8 dst_sel:DWORD dst_unused:UNUSED_PAD src0_sel:WORD_1 src1_sel:DWORD
	v_addc_co_u32_e32 v3, vcc, 0, v3, vcc
	v_fma_f16 v10, v37, v7, v10
	v_cmp_gt_i32_e32 vcc, 31, v6
	v_cvt_f32_f16_e32 v10, v10
	v_cndmask_b32_e32 v3, v1, v3, vcc
	v_cmp_ne_u32_e32 vcc, 0, v2
	v_cndmask_b32_e64 v2, 0, 1, vcc
	v_lshl_or_b32 v2, v2, 9, v1
	v_cmp_eq_u32_e32 vcc, s10, v6
	v_cndmask_b32_e32 v6, v3, v2, vcc
	v_cvt_f64_f32_e32 v[2:3], v10
	v_lshrrev_b32_e32 v9, 16, v9
	v_and_or_b32 v6, v9, s11, v6
	v_and_b32_e32 v0, 0xffff, v0
	v_mul_f64 v[2:3], v[2:3], s[2:3]
	v_lshl_or_b32 v0, v6, 16, v0
	v_mov_b32_e32 v6, s4
	v_add_co_u32_e32 v4, vcc, s5, v4
	v_addc_co_u32_e32 v5, vcc, v5, v6, vcc
	global_store_dword v[4:5], v0, off
	v_and_or_b32 v0, v3, s6, v2
	v_cmp_ne_u32_e32 vcc, 0, v0
	v_cndmask_b32_e64 v0, 0, 1, vcc
	v_lshrrev_b32_e32 v2, 8, v3
	v_bfe_u32 v6, v3, 20, 11
	v_and_or_b32 v0, v2, s7, v0
	v_sub_u32_e32 v9, 0x3f1, v6
	v_or_b32_e32 v2, 0x1000, v0
	v_med3_i32 v9, v9, 0, 13
	v_lshrrev_b32_e32 v10, v9, v2
	v_lshlrev_b32_e32 v9, v9, v10
	v_mul_f16_sdwa v7, v37, v7 dst_sel:DWORD dst_unused:UNUSED_PAD src0_sel:WORD_1 src1_sel:DWORD
	v_cmp_ne_u32_e32 vcc, v9, v2
	v_fma_f16 v7, v37, v8, -v7
	v_cndmask_b32_e64 v2, 0, 1, vcc
	v_add_u32_e32 v9, 0xfffffc10, v6
	v_cvt_f32_f16_e32 v7, v7
	v_or_b32_e32 v2, v10, v2
	v_lshl_or_b32 v6, v9, 12, v0
	v_cmp_gt_i32_e32 vcc, 1, v9
	v_cndmask_b32_e32 v2, v6, v2, vcc
	v_and_b32_e32 v6, 7, v2
	v_cmp_lt_i32_e32 vcc, 5, v6
	v_cmp_eq_u32_e64 s[0:1], 3, v6
	v_cvt_f64_f32_e32 v[6:7], v7
	v_lshrrev_b32_e32 v2, 2, v2
	s_or_b64 vcc, s[0:1], vcc
	v_addc_co_u32_e32 v2, vcc, 0, v2, vcc
	v_mul_f64 v[6:7], v[6:7], s[2:3]
	v_cmp_gt_i32_e32 vcc, 31, v9
	v_cndmask_b32_e32 v2, v1, v2, vcc
	v_cmp_ne_u32_e32 vcc, 0, v0
	v_cndmask_b32_e64 v0, 0, 1, vcc
	v_lshl_or_b32 v0, v0, 9, v1
	v_cmp_eq_u32_e32 vcc, s10, v9
	v_cndmask_b32_e32 v0, v2, v0, vcc
	v_lshrrev_b32_e32 v2, 16, v3
	v_and_or_b32 v0, v2, s11, v0
	v_and_or_b32 v2, v7, s6, v6
	v_cmp_ne_u32_e32 vcc, 0, v2
	v_cndmask_b32_e64 v2, 0, 1, vcc
	v_lshrrev_b32_e32 v3, 8, v7
	v_bfe_u32 v6, v7, 20, 11
	v_and_or_b32 v2, v3, s7, v2
	v_sub_u32_e32 v8, 0x3f1, v6
	v_or_b32_e32 v3, 0x1000, v2
	v_med3_i32 v8, v8, 0, 13
	v_lshrrev_b32_e32 v9, v8, v3
	v_lshlrev_b32_e32 v8, v8, v9
	v_cmp_ne_u32_e32 vcc, v8, v3
	v_cndmask_b32_e64 v3, 0, 1, vcc
	v_add_u32_e32 v6, 0xfffffc10, v6
	v_or_b32_e32 v3, v9, v3
	v_lshl_or_b32 v8, v6, 12, v2
	v_cmp_gt_i32_e32 vcc, 1, v6
	v_cndmask_b32_e32 v3, v8, v3, vcc
	v_and_b32_e32 v8, 7, v3
	v_cmp_lt_i32_e32 vcc, 5, v8
	v_cmp_eq_u32_e64 s[0:1], 3, v8
	ds_read_b32 v8, v36 offset:3080
	v_lshrrev_b32_e32 v3, 2, v3
	s_or_b64 vcc, s[0:1], vcc
	v_addc_co_u32_e32 v3, vcc, 0, v3, vcc
	s_waitcnt lgkmcnt(0)
	v_lshrrev_b32_e32 v9, 16, v8
	v_mul_f16_sdwa v10, v35, v9 dst_sel:DWORD dst_unused:UNUSED_PAD src0_sel:WORD_1 src1_sel:DWORD
	v_fma_f16 v10, v35, v8, v10
	v_cmp_gt_i32_e32 vcc, 31, v6
	v_cvt_f32_f16_e32 v10, v10
	v_cndmask_b32_e32 v3, v1, v3, vcc
	v_cmp_ne_u32_e32 vcc, 0, v2
	v_cndmask_b32_e64 v2, 0, 1, vcc
	v_lshl_or_b32 v2, v2, 9, v1
	v_cmp_eq_u32_e32 vcc, s10, v6
	v_cndmask_b32_e32 v6, v3, v2, vcc
	v_cvt_f64_f32_e32 v[2:3], v10
	v_lshrrev_b32_e32 v7, 16, v7
	v_and_or_b32 v6, v7, s11, v6
	v_and_b32_e32 v0, 0xffff, v0
	v_mul_f64 v[2:3], v[2:3], s[2:3]
	v_lshl_or_b32 v0, v6, 16, v0
	v_mov_b32_e32 v6, s4
	v_add_co_u32_e32 v4, vcc, s5, v4
	v_addc_co_u32_e32 v5, vcc, v5, v6, vcc
	global_store_dword v[4:5], v0, off
	v_and_or_b32 v0, v3, s6, v2
	v_cmp_ne_u32_e32 vcc, 0, v0
	v_cndmask_b32_e64 v0, 0, 1, vcc
	v_lshrrev_b32_e32 v2, 8, v3
	v_bfe_u32 v6, v3, 20, 11
	v_and_or_b32 v0, v2, s7, v0
	v_sub_u32_e32 v7, 0x3f1, v6
	v_or_b32_e32 v2, 0x1000, v0
	v_med3_i32 v7, v7, 0, 13
	v_lshrrev_b32_e32 v10, v7, v2
	v_lshlrev_b32_e32 v7, v7, v10
	v_cmp_ne_u32_e32 vcc, v7, v2
	v_mul_f16_sdwa v7, v35, v8 dst_sel:DWORD dst_unused:UNUSED_PAD src0_sel:WORD_1 src1_sel:DWORD
	v_cndmask_b32_e64 v2, 0, 1, vcc
	v_fma_f16 v7, v35, v9, -v7
	v_or_b32_e32 v2, v10, v2
	v_add_u32_e32 v10, 0xfffffc10, v6
	v_cvt_f32_f16_e32 v7, v7
	v_lshl_or_b32 v6, v10, 12, v0
	v_cmp_gt_i32_e32 vcc, 1, v10
	v_cndmask_b32_e32 v2, v6, v2, vcc
	v_and_b32_e32 v6, 7, v2
	v_cmp_lt_i32_e32 vcc, 5, v6
	v_cmp_eq_u32_e64 s[0:1], 3, v6
	v_cvt_f64_f32_e32 v[6:7], v7
	v_lshrrev_b32_e32 v2, 2, v2
	s_or_b64 vcc, s[0:1], vcc
	v_addc_co_u32_e32 v2, vcc, 0, v2, vcc
	v_mul_f64 v[6:7], v[6:7], s[2:3]
	v_cmp_gt_i32_e32 vcc, 31, v10
	v_cndmask_b32_e32 v2, v1, v2, vcc
	v_cmp_ne_u32_e32 vcc, 0, v0
	v_cndmask_b32_e64 v0, 0, 1, vcc
	v_lshl_or_b32 v0, v0, 9, v1
	v_cmp_eq_u32_e32 vcc, s10, v10
	v_cndmask_b32_e32 v0, v2, v0, vcc
	v_lshrrev_b32_e32 v2, 16, v3
	v_and_or_b32 v0, v2, s11, v0
	v_and_or_b32 v2, v7, s6, v6
	v_cmp_ne_u32_e32 vcc, 0, v2
	v_cndmask_b32_e64 v2, 0, 1, vcc
	v_lshrrev_b32_e32 v3, 8, v7
	v_bfe_u32 v6, v7, 20, 11
	v_and_or_b32 v2, v3, s7, v2
	v_sub_u32_e32 v8, 0x3f1, v6
	v_or_b32_e32 v3, 0x1000, v2
	v_med3_i32 v8, v8, 0, 13
	v_lshrrev_b32_e32 v9, v8, v3
	v_lshlrev_b32_e32 v8, v8, v9
	v_cmp_ne_u32_e32 vcc, v8, v3
	v_cndmask_b32_e64 v3, 0, 1, vcc
	v_add_u32_e32 v6, 0xfffffc10, v6
	v_or_b32_e32 v3, v9, v3
	v_lshl_or_b32 v8, v6, 12, v2
	v_cmp_gt_i32_e32 vcc, 1, v6
	v_cndmask_b32_e32 v3, v8, v3, vcc
	v_and_b32_e32 v8, 7, v3
	v_cmp_lt_i32_e32 vcc, 5, v8
	v_cmp_eq_u32_e64 s[0:1], 3, v8
	v_lshrrev_b32_e32 v3, 2, v3
	s_or_b64 vcc, s[0:1], vcc
	v_addc_co_u32_e32 v3, vcc, 0, v3, vcc
	v_cmp_gt_i32_e32 vcc, 31, v6
	v_cndmask_b32_e32 v3, v1, v3, vcc
	v_cmp_ne_u32_e32 vcc, 0, v2
	v_cndmask_b32_e64 v2, 0, 1, vcc
	v_lshl_or_b32 v1, v2, 9, v1
	v_cmp_eq_u32_e32 vcc, s10, v6
	v_cndmask_b32_e32 v1, v3, v1, vcc
	v_lshrrev_b32_e32 v2, 16, v7
	v_and_or_b32 v1, v2, s11, v1
	v_and_b32_e32 v0, 0xffff, v0
	v_lshl_or_b32 v2, v1, 16, v0
	v_mov_b32_e32 v1, s4
	v_add_co_u32_e32 v0, vcc, s5, v4
	v_addc_co_u32_e32 v1, vcc, v5, v1, vcc
	global_store_dword v[0:1], v2, off
.LBB0_10:
	s_endpgm
	.section	.rodata,"a",@progbits
	.p2align	6, 0x0
	.amdhsa_kernel bluestein_single_fwd_len847_dim1_half_op_CI_CI
		.amdhsa_group_segment_fixed_size 10164
		.amdhsa_private_segment_fixed_size 0
		.amdhsa_kernarg_size 104
		.amdhsa_user_sgpr_count 6
		.amdhsa_user_sgpr_private_segment_buffer 1
		.amdhsa_user_sgpr_dispatch_ptr 0
		.amdhsa_user_sgpr_queue_ptr 0
		.amdhsa_user_sgpr_kernarg_segment_ptr 1
		.amdhsa_user_sgpr_dispatch_id 0
		.amdhsa_user_sgpr_flat_scratch_init 0
		.amdhsa_user_sgpr_private_segment_size 0
		.amdhsa_uses_dynamic_stack 0
		.amdhsa_system_sgpr_private_segment_wavefront_offset 0
		.amdhsa_system_sgpr_workgroup_id_x 1
		.amdhsa_system_sgpr_workgroup_id_y 0
		.amdhsa_system_sgpr_workgroup_id_z 0
		.amdhsa_system_sgpr_workgroup_info 0
		.amdhsa_system_vgpr_workitem_id 0
		.amdhsa_next_free_vgpr 94
		.amdhsa_next_free_sgpr 21
		.amdhsa_reserve_vcc 1
		.amdhsa_reserve_flat_scratch 0
		.amdhsa_float_round_mode_32 0
		.amdhsa_float_round_mode_16_64 0
		.amdhsa_float_denorm_mode_32 3
		.amdhsa_float_denorm_mode_16_64 3
		.amdhsa_dx10_clamp 1
		.amdhsa_ieee_mode 1
		.amdhsa_fp16_overflow 0
		.amdhsa_exception_fp_ieee_invalid_op 0
		.amdhsa_exception_fp_denorm_src 0
		.amdhsa_exception_fp_ieee_div_zero 0
		.amdhsa_exception_fp_ieee_overflow 0
		.amdhsa_exception_fp_ieee_underflow 0
		.amdhsa_exception_fp_ieee_inexact 0
		.amdhsa_exception_int_div_zero 0
	.end_amdhsa_kernel
	.text
.Lfunc_end0:
	.size	bluestein_single_fwd_len847_dim1_half_op_CI_CI, .Lfunc_end0-bluestein_single_fwd_len847_dim1_half_op_CI_CI
                                        ; -- End function
	.section	.AMDGPU.csdata,"",@progbits
; Kernel info:
; codeLenInByte = 20404
; NumSgprs: 25
; NumVgprs: 94
; ScratchSize: 0
; MemoryBound: 0
; FloatMode: 240
; IeeeMode: 1
; LDSByteSize: 10164 bytes/workgroup (compile time only)
; SGPRBlocks: 3
; VGPRBlocks: 23
; NumSGPRsForWavesPerEU: 25
; NumVGPRsForWavesPerEU: 94
; Occupancy: 2
; WaveLimiterHint : 1
; COMPUTE_PGM_RSRC2:SCRATCH_EN: 0
; COMPUTE_PGM_RSRC2:USER_SGPR: 6
; COMPUTE_PGM_RSRC2:TRAP_HANDLER: 0
; COMPUTE_PGM_RSRC2:TGID_X_EN: 1
; COMPUTE_PGM_RSRC2:TGID_Y_EN: 0
; COMPUTE_PGM_RSRC2:TGID_Z_EN: 0
; COMPUTE_PGM_RSRC2:TIDIG_COMP_CNT: 0
	.type	__hip_cuid_4b35547c55acbfb1,@object ; @__hip_cuid_4b35547c55acbfb1
	.section	.bss,"aw",@nobits
	.globl	__hip_cuid_4b35547c55acbfb1
__hip_cuid_4b35547c55acbfb1:
	.byte	0                               ; 0x0
	.size	__hip_cuid_4b35547c55acbfb1, 1

	.ident	"AMD clang version 19.0.0git (https://github.com/RadeonOpenCompute/llvm-project roc-6.4.0 25133 c7fe45cf4b819c5991fe208aaa96edf142730f1d)"
	.section	".note.GNU-stack","",@progbits
	.addrsig
	.addrsig_sym __hip_cuid_4b35547c55acbfb1
	.amdgpu_metadata
---
amdhsa.kernels:
  - .args:
      - .actual_access:  read_only
        .address_space:  global
        .offset:         0
        .size:           8
        .value_kind:     global_buffer
      - .actual_access:  read_only
        .address_space:  global
        .offset:         8
        .size:           8
        .value_kind:     global_buffer
      - .actual_access:  read_only
        .address_space:  global
        .offset:         16
        .size:           8
        .value_kind:     global_buffer
      - .actual_access:  read_only
        .address_space:  global
        .offset:         24
        .size:           8
        .value_kind:     global_buffer
      - .actual_access:  read_only
        .address_space:  global
        .offset:         32
        .size:           8
        .value_kind:     global_buffer
      - .offset:         40
        .size:           8
        .value_kind:     by_value
      - .address_space:  global
        .offset:         48
        .size:           8
        .value_kind:     global_buffer
      - .address_space:  global
        .offset:         56
        .size:           8
        .value_kind:     global_buffer
      - .address_space:  global
        .offset:         64
        .size:           8
        .value_kind:     global_buffer
      - .address_space:  global
        .offset:         72
        .size:           8
        .value_kind:     global_buffer
      - .offset:         80
        .size:           4
        .value_kind:     by_value
      - .address_space:  global
        .offset:         88
        .size:           8
        .value_kind:     global_buffer
      - .address_space:  global
        .offset:         96
        .size:           8
        .value_kind:     global_buffer
    .group_segment_fixed_size: 10164
    .kernarg_segment_align: 8
    .kernarg_segment_size: 104
    .language:       OpenCL C
    .language_version:
      - 2
      - 0
    .max_flat_workgroup_size: 231
    .name:           bluestein_single_fwd_len847_dim1_half_op_CI_CI
    .private_segment_fixed_size: 0
    .sgpr_count:     25
    .sgpr_spill_count: 0
    .symbol:         bluestein_single_fwd_len847_dim1_half_op_CI_CI.kd
    .uniform_work_group_size: 1
    .uses_dynamic_stack: false
    .vgpr_count:     94
    .vgpr_spill_count: 0
    .wavefront_size: 64
amdhsa.target:   amdgcn-amd-amdhsa--gfx906
amdhsa.version:
  - 1
  - 2
...

	.end_amdgpu_metadata
